;; amdgpu-corpus repo=ROCm/rocFFT kind=compiled arch=gfx950 opt=O3
	.text
	.amdgcn_target "amdgcn-amd-amdhsa--gfx950"
	.amdhsa_code_object_version 6
	.protected	fft_rtc_back_len1372_factors_2_2_7_7_7_wgs_196_tpt_98_halfLds_sp_op_CI_CI_unitstride_sbrr_R2C_dirReg ; -- Begin function fft_rtc_back_len1372_factors_2_2_7_7_7_wgs_196_tpt_98_halfLds_sp_op_CI_CI_unitstride_sbrr_R2C_dirReg
	.globl	fft_rtc_back_len1372_factors_2_2_7_7_7_wgs_196_tpt_98_halfLds_sp_op_CI_CI_unitstride_sbrr_R2C_dirReg
	.p2align	8
	.type	fft_rtc_back_len1372_factors_2_2_7_7_7_wgs_196_tpt_98_halfLds_sp_op_CI_CI_unitstride_sbrr_R2C_dirReg,@function
fft_rtc_back_len1372_factors_2_2_7_7_7_wgs_196_tpt_98_halfLds_sp_op_CI_CI_unitstride_sbrr_R2C_dirReg: ; @fft_rtc_back_len1372_factors_2_2_7_7_7_wgs_196_tpt_98_halfLds_sp_op_CI_CI_unitstride_sbrr_R2C_dirReg
; %bb.0:
	s_load_dwordx4 s[4:7], s[0:1], 0x58
	s_load_dwordx4 s[8:11], s[0:1], 0x0
	;; [unrolled: 1-line block ×3, first 2 shown]
	v_mul_u32_u24_e32 v1, 0x29d, v0
	v_lshrrev_b32_e32 v1, 16, v1
	v_lshl_add_u32 v6, s2, 1, v1
	v_mov_b32_e32 v4, 0
	s_waitcnt lgkmcnt(0)
	v_cmp_lt_u64_e64 s[2:3], s[10:11], 2
	v_mov_b32_e32 v7, v4
	s_and_b64 vcc, exec, s[2:3]
	v_mov_b64_e32 v[2:3], 0
	s_cbranch_vccnz .LBB0_8
; %bb.1:
	s_load_dwordx2 s[2:3], s[0:1], 0x10
	s_add_u32 s16, s14, 8
	s_addc_u32 s17, s15, 0
	s_add_u32 s18, s12, 8
	s_addc_u32 s19, s13, 0
	s_waitcnt lgkmcnt(0)
	s_add_u32 s20, s2, 8
	v_mov_b64_e32 v[2:3], 0
	s_addc_u32 s21, s3, 0
	s_mov_b64 s[22:23], 1
	v_mov_b64_e32 v[8:9], v[2:3]
.LBB0_2:                                ; =>This Inner Loop Header: Depth=1
	s_load_dwordx2 s[24:25], s[20:21], 0x0
                                        ; implicit-def: $vgpr10_vgpr11
	s_waitcnt lgkmcnt(0)
	v_or_b32_e32 v5, s25, v7
	v_cmp_ne_u64_e32 vcc, 0, v[4:5]
	s_and_saveexec_b64 s[2:3], vcc
	s_xor_b64 s[26:27], exec, s[2:3]
	s_cbranch_execz .LBB0_4
; %bb.3:                                ;   in Loop: Header=BB0_2 Depth=1
	v_cvt_f32_u32_e32 v5, s24
	v_cvt_f32_u32_e32 v10, s25
	s_sub_u32 s2, 0, s24
	s_subb_u32 s3, 0, s25
	v_fmac_f32_e32 v5, 0x4f800000, v10
	v_rcp_f32_e32 v5, v5
	s_nop 0
	v_mul_f32_e32 v5, 0x5f7ffffc, v5
	v_mul_f32_e32 v10, 0x2f800000, v5
	v_trunc_f32_e32 v10, v10
	v_fmac_f32_e32 v5, 0xcf800000, v10
	v_cvt_u32_f32_e32 v14, v10
	v_cvt_u32_f32_e32 v5, v5
	v_mul_lo_u32 v10, s2, v14
	v_mul_hi_u32 v12, s2, v5
	v_mul_lo_u32 v11, s3, v5
	v_add_u32_e32 v12, v12, v10
	v_mul_lo_u32 v15, s2, v5
	v_add_u32_e32 v16, v12, v11
	v_mul_hi_u32 v10, v5, v15
	v_mul_hi_u32 v13, v5, v16
	v_mul_lo_u32 v12, v5, v16
	v_mov_b32_e32 v11, v4
	v_lshl_add_u64 v[10:11], v[10:11], 0, v[12:13]
	v_mul_hi_u32 v13, v14, v15
	v_mul_lo_u32 v15, v14, v15
	v_add_co_u32_e32 v10, vcc, v10, v15
	v_mul_hi_u32 v12, v14, v16
	s_nop 0
	v_addc_co_u32_e32 v10, vcc, v11, v13, vcc
	v_mov_b32_e32 v11, v4
	s_nop 0
	v_addc_co_u32_e32 v13, vcc, 0, v12, vcc
	v_mul_lo_u32 v12, v14, v16
	v_lshl_add_u64 v[10:11], v[10:11], 0, v[12:13]
	v_add_co_u32_e32 v5, vcc, v5, v10
	v_mul_lo_u32 v12, s2, v5
	s_nop 0
	v_addc_co_u32_e32 v14, vcc, v14, v11, vcc
	v_mul_lo_u32 v10, s2, v14
	v_mul_hi_u32 v11, s2, v5
	v_add_u32_e32 v10, v11, v10
	v_mul_lo_u32 v11, s3, v5
	v_add_u32_e32 v15, v10, v11
	v_mul_hi_u32 v17, v14, v12
	v_mul_lo_u32 v18, v14, v12
	v_mul_hi_u32 v11, v5, v15
	v_mul_lo_u32 v10, v5, v15
	v_mul_hi_u32 v12, v5, v12
	v_mov_b32_e32 v13, v4
	v_lshl_add_u64 v[10:11], v[12:13], 0, v[10:11]
	v_add_co_u32_e32 v10, vcc, v10, v18
	v_mul_hi_u32 v16, v14, v15
	s_nop 0
	v_addc_co_u32_e32 v10, vcc, v11, v17, vcc
	v_mul_lo_u32 v12, v14, v15
	s_nop 0
	v_addc_co_u32_e32 v13, vcc, 0, v16, vcc
	v_mov_b32_e32 v11, v4
	v_lshl_add_u64 v[10:11], v[10:11], 0, v[12:13]
	v_add_co_u32_e32 v5, vcc, v5, v10
	v_mul_hi_u32 v12, v6, v5
	s_nop 0
	v_addc_co_u32_e32 v14, vcc, v14, v11, vcc
	v_mad_u64_u32 v[10:11], s[2:3], v6, v14, 0
	v_mov_b32_e32 v13, v4
	v_lshl_add_u64 v[10:11], v[12:13], 0, v[10:11]
	v_mad_u64_u32 v[12:13], s[2:3], v7, v14, 0
	v_mad_u64_u32 v[14:15], s[2:3], v7, v5, 0
	v_add_co_u32_e32 v5, vcc, v10, v14
	s_nop 1
	v_addc_co_u32_e32 v10, vcc, v11, v15, vcc
	v_mov_b32_e32 v11, v4
	s_nop 0
	v_addc_co_u32_e32 v13, vcc, 0, v13, vcc
	v_lshl_add_u64 v[10:11], v[10:11], 0, v[12:13]
	v_mul_lo_u32 v5, s25, v10
	v_mul_lo_u32 v14, s24, v11
	v_mad_u64_u32 v[12:13], s[2:3], s24, v10, 0
	v_add3_u32 v5, v13, v14, v5
	v_sub_u32_e32 v13, v7, v5
	v_mov_b32_e32 v14, s25
	v_sub_co_u32_e32 v16, vcc, v6, v12
	s_nop 1
	v_subb_co_u32_e64 v12, s[2:3], v13, v14, vcc
	v_subrev_co_u32_e64 v13, s[2:3], s24, v16
	v_subb_co_u32_e32 v5, vcc, v7, v5, vcc
	s_nop 0
	v_subbrev_co_u32_e64 v12, s[2:3], 0, v12, s[2:3]
	v_cmp_le_u32_e64 s[2:3], s25, v12
	v_cmp_le_u32_e32 vcc, s25, v5
	s_nop 0
	v_cndmask_b32_e64 v14, 0, -1, s[2:3]
	v_cmp_le_u32_e64 s[2:3], s24, v13
	s_nop 1
	v_cndmask_b32_e64 v13, 0, -1, s[2:3]
	v_cmp_eq_u32_e64 s[2:3], s25, v12
	s_nop 1
	v_cndmask_b32_e64 v17, v14, v13, s[2:3]
	v_lshl_add_u64 v[12:13], v[10:11], 0, 2
	v_lshl_add_u64 v[14:15], v[10:11], 0, 1
	v_cmp_ne_u32_e64 s[2:3], 0, v17
	s_nop 1
	v_cndmask_b32_e64 v13, v15, v13, s[2:3]
	v_cndmask_b32_e64 v15, 0, -1, vcc
	v_cmp_le_u32_e32 vcc, s24, v16
	s_nop 1
	v_cndmask_b32_e64 v16, 0, -1, vcc
	v_cmp_eq_u32_e32 vcc, s25, v5
	s_nop 1
	v_cndmask_b32_e32 v5, v15, v16, vcc
	v_cmp_ne_u32_e32 vcc, 0, v5
	v_cndmask_b32_e64 v5, v14, v12, s[2:3]
	s_nop 0
	v_cndmask_b32_e32 v11, v11, v13, vcc
	v_cndmask_b32_e32 v10, v10, v5, vcc
.LBB0_4:                                ;   in Loop: Header=BB0_2 Depth=1
	s_andn2_saveexec_b64 s[2:3], s[26:27]
	s_cbranch_execz .LBB0_6
; %bb.5:                                ;   in Loop: Header=BB0_2 Depth=1
	v_cvt_f32_u32_e32 v5, s24
	s_sub_i32 s26, 0, s24
	v_rcp_iflag_f32_e32 v5, v5
	s_nop 0
	v_mul_f32_e32 v5, 0x4f7ffffe, v5
	v_cvt_u32_f32_e32 v5, v5
	v_mul_lo_u32 v10, s26, v5
	v_mul_hi_u32 v10, v5, v10
	v_add_u32_e32 v5, v5, v10
	v_mul_hi_u32 v5, v6, v5
	v_mul_lo_u32 v10, v5, s24
	v_sub_u32_e32 v10, v6, v10
	v_add_u32_e32 v11, 1, v5
	v_subrev_u32_e32 v12, s24, v10
	v_cmp_le_u32_e32 vcc, s24, v10
	s_nop 1
	v_cndmask_b32_e32 v10, v10, v12, vcc
	v_cndmask_b32_e32 v5, v5, v11, vcc
	v_add_u32_e32 v11, 1, v5
	v_cmp_le_u32_e32 vcc, s24, v10
	s_nop 1
	v_cndmask_b32_e32 v10, v5, v11, vcc
	v_mov_b32_e32 v11, v4
.LBB0_6:                                ;   in Loop: Header=BB0_2 Depth=1
	s_or_b64 exec, exec, s[2:3]
	v_mad_u64_u32 v[12:13], s[2:3], v10, s24, 0
	s_load_dwordx2 s[2:3], s[18:19], 0x0
	v_mul_lo_u32 v5, v11, s24
	v_mul_lo_u32 v14, v10, s25
	s_load_dwordx2 s[24:25], s[16:17], 0x0
	s_add_u32 s22, s22, 1
	v_add3_u32 v5, v13, v14, v5
	v_sub_co_u32_e32 v6, vcc, v6, v12
	s_addc_u32 s23, s23, 0
	s_nop 0
	v_subb_co_u32_e32 v5, vcc, v7, v5, vcc
	s_add_u32 s16, s16, 8
	s_waitcnt lgkmcnt(0)
	v_mul_lo_u32 v7, s2, v5
	v_mul_lo_u32 v12, s3, v6
	v_mad_u64_u32 v[2:3], s[2:3], s2, v6, v[2:3]
	s_addc_u32 s17, s17, 0
	v_add3_u32 v3, v12, v3, v7
	v_mul_lo_u32 v5, s24, v5
	v_mul_lo_u32 v7, s25, v6
	v_mad_u64_u32 v[8:9], s[2:3], s24, v6, v[8:9]
	s_add_u32 s18, s18, 8
	v_add3_u32 v9, v7, v9, v5
	s_addc_u32 s19, s19, 0
	v_mov_b64_e32 v[6:7], s[10:11]
	s_add_u32 s20, s20, 8
	v_cmp_ge_u64_e32 vcc, s[22:23], v[6:7]
	s_addc_u32 s21, s21, 0
	s_cbranch_vccnz .LBB0_9
; %bb.7:                                ;   in Loop: Header=BB0_2 Depth=1
	v_mov_b64_e32 v[6:7], v[10:11]
	s_branch .LBB0_2
.LBB0_8:
	v_mov_b64_e32 v[8:9], v[2:3]
	v_mov_b64_e32 v[10:11], v[6:7]
.LBB0_9:
	s_load_dwordx2 s[2:3], s[0:1], 0x28
	s_lshl_b64 s[16:17], s[10:11], 3
	s_add_u32 s10, s14, s16
	v_and_b32_e32 v1, 1, v1
	s_addc_u32 s11, s15, s17
	v_cmp_eq_u32_e32 vcc, 1, v1
	v_mov_b32_e32 v1, 0x55d
	s_waitcnt lgkmcnt(0)
	v_cmp_gt_u64_e64 s[0:1], s[2:3], v[10:11]
	v_cmp_le_u64_e64 s[2:3], s[2:3], v[10:11]
                                        ; implicit-def: $vgpr12
                                        ; implicit-def: $vgpr14
                                        ; implicit-def: $vgpr22
                                        ; implicit-def: $vgpr24
                                        ; implicit-def: $vgpr20
                                        ; implicit-def: $vgpr18
                                        ; implicit-def: $vgpr16
	s_and_saveexec_b64 s[14:15], s[2:3]
	s_xor_b64 s[2:3], exec, s[14:15]
; %bb.10:
	s_mov_b32 s14, 0x29cbc15
	v_mul_hi_u32 v2, v0, s14
	v_mul_u32_u24_e32 v2, 0x62, v2
	v_sub_u32_e32 v12, v0, v2
	v_add_u32_e32 v14, 0x62, v12
	v_add_u32_e32 v22, 0xc4, v12
	;; [unrolled: 1-line block ×6, first 2 shown]
                                        ; implicit-def: $vgpr0
                                        ; implicit-def: $vgpr2_vgpr3
; %bb.11:
	s_or_saveexec_b64 s[2:3], s[2:3]
	v_cndmask_b32_e32 v1, 0, v1, vcc
	v_lshlrev_b32_e32 v30, 3, v1
	s_xor_b64 exec, exec, s[2:3]
	s_cbranch_execz .LBB0_13
; %bb.12:
	s_add_u32 s12, s12, s16
	s_addc_u32 s13, s13, s17
	s_load_dwordx2 s[12:13], s[12:13], 0x0
	s_mov_b32 s14, 0x29cbc15
	s_waitcnt lgkmcnt(0)
	v_mul_lo_u32 v1, s13, v10
	v_mul_lo_u32 v6, s12, v11
	v_mad_u64_u32 v[4:5], s[12:13], s12, v10, 0
	v_add3_u32 v5, v5, v6, v1
	v_mul_hi_u32 v1, v0, s14
	v_mul_u32_u24_e32 v1, 0x62, v1
	v_sub_u32_e32 v12, v0, v1
	v_lshl_add_u64 v[0:1], v[4:5], 3, s[4:5]
	v_lshl_add_u64 v[0:1], v[2:3], 3, v[0:1]
	v_lshlrev_b32_e32 v2, 3, v12
	v_mov_b32_e32 v3, 0
	v_lshl_add_u64 v[0:1], v[0:1], 0, v[2:3]
	s_movk_i32 s4, 0x1000
	v_add_co_u32_e32 v14, vcc, s4, v0
	global_load_dwordx2 v[4:5], v[0:1], off
	global_load_dwordx2 v[6:7], v[0:1], off offset:784
	global_load_dwordx2 v[26:27], v[0:1], off offset:1568
	;; [unrolled: 1-line block ×3, first 2 shown]
	v_addc_co_u32_e32 v15, vcc, 0, v1, vcc
	global_load_dwordx2 v[32:33], v[0:1], off offset:3136
	global_load_dwordx2 v[34:35], v[0:1], off offset:3920
	;; [unrolled: 1-line block ×4, first 2 shown]
	v_add_co_u32_e32 v0, vcc, 0x2000, v0
	v_add_u32_e32 v22, 0xc4, v12
	s_nop 0
	v_addc_co_u32_e32 v1, vcc, 0, v1, vcc
	global_load_dwordx2 v[40:41], v[14:15], off offset:2176
	global_load_dwordx2 v[42:43], v[14:15], off offset:2960
	;; [unrolled: 1-line block ×6, first 2 shown]
	v_add_u32_e32 v14, 0x62, v12
	v_add_u32_e32 v24, 0x126, v12
	;; [unrolled: 1-line block ×5, first 2 shown]
	v_add3_u32 v0, 0, v30, v2
	v_add_u32_e32 v1, 0x400, v0
	v_add_u32_e32 v2, 0x800, v0
	;; [unrolled: 1-line block ×6, first 2 shown]
	s_waitcnt vmcnt(12)
	ds_write2_b64 v0, v[4:5], v[6:7] offset1:98
	s_waitcnt vmcnt(10)
	ds_write2_b64 v1, v[26:27], v[28:29] offset0:68 offset1:166
	s_waitcnt vmcnt(8)
	ds_write2_b64 v2, v[32:33], v[34:35] offset0:136 offset1:234
	s_waitcnt vmcnt(6)
	ds_write2_b64 v3, v[36:37], v[38:39] offset0:76 offset1:174
	s_waitcnt vmcnt(4)
	ds_write2_b64 v13, v[40:41], v[42:43] offset0:16 offset1:114
	s_waitcnt vmcnt(2)
	ds_write2_b64 v15, v[44:45], v[46:47] offset0:84 offset1:182
	s_waitcnt vmcnt(0)
	ds_write2_b64 v17, v[48:49], v[50:51] offset0:152 offset1:250
.LBB0_13:
	s_or_b64 exec, exec, s[2:3]
	v_lshlrev_b32_e32 v13, 3, v12
	v_add3_u32 v15, 0, v13, v30
	v_add_u32_e32 v19, 0xc00, v15
	s_load_dwordx2 s[2:3], s[10:11], 0x0
	s_waitcnt lgkmcnt(0)
	s_barrier
	ds_read2_b64 v[0:3], v19 offset0:106 offset1:204
	v_add_u32_e32 v25, 0x2000, v15
	ds_read_b64 v[32:33], v15 offset:10192
	ds_read2_b64 v[4:7], v25 offset0:54 offset1:152
	v_add_u32_e32 v38, 0, v30
	v_add_u32_e32 v21, 0x800, v15
	;; [unrolled: 1-line block ×3, first 2 shown]
	ds_read2_b64 v[26:29], v21 offset0:38 offset1:136
	ds_read_b64 v[36:37], v17
	v_add_u32_e32 v39, 0x1400, v15
	s_waitcnt lgkmcnt(3)
	v_pk_add_f32 v[40:41], v[2:3], v[32:33] neg_lo:[0,1] neg_hi:[0,1]
	s_waitcnt lgkmcnt(2)
	v_pk_add_f32 v[44:45], v[0:1], v[6:7] neg_lo:[0,1] neg_hi:[0,1]
	v_add_u32_e32 v21, 0x1800, v15
	ds_read2_b64 v[32:35], v39 offset0:46 offset1:144
	v_pk_fma_f32 v[42:43], v[2:3], 2.0, v[40:41] op_sel_hi:[1,0,1] neg_lo:[0,0,1] neg_hi:[0,0,1]
	v_pk_fma_f32 v[46:47], v[0:1], 2.0, v[44:45] op_sel_hi:[1,0,1] neg_lo:[0,0,1] neg_hi:[0,0,1]
	s_waitcnt lgkmcnt(2)
	v_pk_add_f32 v[48:49], v[28:29], v[4:5] neg_lo:[0,1] neg_hi:[0,1]
	ds_read2_b64 v[0:3], v21 offset0:114 offset1:212
	ds_read2_b64 v[4:7], v15 offset0:98 offset1:196
	s_waitcnt lgkmcnt(2)
	v_pk_add_f32 v[32:33], v[36:37], v[32:33] neg_lo:[0,1] neg_hi:[0,1]
	v_add_u32_e32 v23, v15, v13
	v_pk_fma_f32 v[36:37], v[36:37], 2.0, v[32:33] op_sel_hi:[1,0,1] neg_lo:[0,0,1] neg_hi:[0,0,1]
	s_waitcnt lgkmcnt(1)
	v_pk_add_f32 v[2:3], v[26:27], v[2:3] neg_lo:[0,1] neg_hi:[0,1]
	s_waitcnt lgkmcnt(0)
	v_pk_add_f32 v[0:1], v[6:7], v[0:1] neg_lo:[0,1] neg_hi:[0,1]
	v_pk_add_f32 v[34:35], v[4:5], v[34:35] neg_lo:[0,1] neg_hi:[0,1]
	v_and_b32_e32 v66, 1, v12
	v_lshl_add_u32 v31, v14, 4, v38
	v_lshl_add_u32 v50, v22, 4, v38
	;; [unrolled: 1-line block ×4, first 2 shown]
	v_pk_fma_f32 v[28:29], v[28:29], 2.0, v[48:49] op_sel_hi:[1,0,1] neg_lo:[0,0,1] neg_hi:[0,0,1]
	v_pk_fma_f32 v[26:27], v[26:27], 2.0, v[2:3] op_sel_hi:[1,0,1] neg_lo:[0,0,1] neg_hi:[0,0,1]
	;; [unrolled: 1-line block ×4, first 2 shown]
	v_lshl_add_u32 v53, v18, 4, v38
	v_lshl_add_u32 v54, v16, 4, v38
	s_barrier
	ds_write2_b64 v23, v[36:37], v[32:33] offset1:1
	ds_write2_b64 v31, v[4:5], v[34:35] offset1:1
	;; [unrolled: 1-line block ×7, first 2 shown]
	v_lshlrev_b32_e32 v0, 3, v66
	s_waitcnt lgkmcnt(0)
	s_barrier
	global_load_dwordx2 v[36:37], v0, s[8:9]
	v_lshlrev_b32_e32 v0, 1, v12
	s_movk_i32 s4, 0xfc
	v_lshlrev_b32_e32 v1, 3, v14
	v_lshlrev_b32_e32 v2, 3, v22
	;; [unrolled: 1-line block ×6, first 2 shown]
	v_and_or_b32 v0, v0, s4, v66
	v_sub_u32_e32 v23, v31, v1
	v_sub_u32_e32 v31, v50, v2
	v_sub_u32_e32 v33, v51, v3
	v_sub_u32_e32 v32, v52, v4
	v_sub_u32_e32 v34, v53, v5
	v_sub_u32_e32 v35, v54, v6
	v_lshl_add_u32 v62, v0, 3, v38
	ds_read2_b64 v[0:3], v39 offset0:46 offset1:144
	ds_read2_b64 v[4:7], v21 offset0:114 offset1:212
	ds_read_b64 v[40:41], v35
	ds_read_b64 v[42:43], v34
	;; [unrolled: 1-line block ×6, first 2 shown]
	ds_read_b64 v[52:53], v15 offset:10192
	ds_read_b64 v[54:55], v17
	ds_read2_b64 v[26:29], v25 offset0:54 offset1:152
	s_waitcnt lgkmcnt(0)
	s_barrier
	s_movk_i32 s4, 0x1fc
	s_mov_b32 s22, 0x3f08b237
	s_mov_b32 s23, 0xbeae86e6
	;; [unrolled: 1-line block ×11, first 2 shown]
	v_cmp_ne_u32_e32 vcc, 0, v12
	s_waitcnt vmcnt(0)
	v_pk_mul_f32 v[56:57], v[36:37], v[0:1] op_sel:[0,1]
	s_nop 0
	v_pk_fma_f32 v[60:61], v[36:37], v[0:1], v[56:57] op_sel:[0,0,1] op_sel_hi:[1,1,0]
	v_pk_fma_f32 v[0:1], v[36:37], v[0:1], v[56:57] op_sel:[0,0,1] op_sel_hi:[1,0,0] neg_lo:[1,0,0] neg_hi:[1,0,0]
	v_pk_mul_f32 v[58:59], v[36:37], v[28:29] op_sel:[0,1]
	v_mov_b32_e32 v61, v1
	v_pk_add_f32 v[0:1], v[54:55], v[60:61] neg_lo:[0,1] neg_hi:[0,1]
	s_nop 0
	v_pk_fma_f32 v[54:55], v[54:55], 2.0, v[0:1] op_sel_hi:[1,0,1] neg_lo:[0,0,1] neg_hi:[0,0,1]
	ds_write2_b64 v62, v[54:55], v[0:1] offset1:2
	v_pk_mul_f32 v[54:55], v[36:37], v[26:27] op_sel:[0,1]
	v_pk_fma_f32 v[0:1], v[36:37], v[28:29], v[58:59] op_sel:[0,0,1] op_sel_hi:[1,1,0]
	v_pk_fma_f32 v[56:57], v[36:37], v[26:27], v[54:55] op_sel:[0,0,1] op_sel_hi:[1,1,0]
	v_pk_fma_f32 v[26:27], v[36:37], v[26:27], v[54:55] op_sel:[0,0,1] op_sel_hi:[1,0,0] neg_lo:[1,0,0] neg_hi:[1,0,0]
	v_pk_mul_f32 v[54:55], v[36:37], v[6:7] op_sel:[0,1]
	v_pk_fma_f32 v[28:29], v[36:37], v[28:29], v[58:59] op_sel:[0,0,1] op_sel_hi:[1,0,0] neg_lo:[1,0,0] neg_hi:[1,0,0]
	v_pk_fma_f32 v[58:59], v[36:37], v[6:7], v[54:55] op_sel:[0,0,1] op_sel_hi:[1,1,0]
	v_pk_fma_f32 v[6:7], v[36:37], v[6:7], v[54:55] op_sel:[0,0,1] op_sel_hi:[1,0,0] neg_lo:[1,0,0] neg_hi:[1,0,0]
	v_pk_mul_f32 v[54:55], v[36:37], v[4:5] op_sel:[0,1]
	v_lshlrev_b32_e32 v6, 1, v20
	v_pk_fma_f32 v[60:61], v[36:37], v[4:5], v[54:55] op_sel:[0,0,1] op_sel_hi:[1,1,0]
	v_pk_fma_f32 v[4:5], v[36:37], v[4:5], v[54:55] op_sel:[0,0,1] op_sel_hi:[1,0,0] neg_lo:[1,0,0] neg_hi:[1,0,0]
	v_pk_mul_f32 v[54:55], v[36:37], v[2:3] op_sel:[0,1]
	v_lshlrev_b32_e32 v4, 1, v22
	;; [unrolled: 4-line block ×3, first 2 shown]
	v_and_or_b32 v2, v2, s4, v66
	s_movk_i32 s4, 0x3fc
	v_pk_fma_f32 v[64:65], v[36:37], v[52:53], v[54:55] op_sel:[0,0,1] op_sel_hi:[1,1,0]
	v_pk_fma_f32 v[36:37], v[36:37], v[52:53], v[54:55] op_sel:[0,0,1] op_sel_hi:[1,0,0] neg_lo:[1,0,0] neg_hi:[1,0,0]
	v_mov_b32_e32 v61, v5
	v_lshlrev_b32_e32 v5, 1, v24
	v_lshl_add_u32 v52, v2, 3, v38
	v_and_or_b32 v2, v4, s4, v66
	v_lshl_add_u32 v53, v2, 3, v38
	v_and_or_b32 v2, v5, s4, v66
	s_movk_i32 s4, 0x7fc
	v_mov_b32_e32 v63, v3
	v_lshlrev_b32_e32 v3, 1, v18
	v_lshl_add_u32 v54, v2, 3, v38
	v_and_or_b32 v2, v6, s4, v66
	v_mov_b32_e32 v59, v7
	v_lshlrev_b32_e32 v7, 1, v16
	v_lshl_add_u32 v55, v2, 3, v38
	v_and_or_b32 v2, v3, s4, v66
	s_movk_i32 s4, 0x5fc
	v_mov_b32_e32 v65, v37
	v_mov_b32_e32 v1, v29
	v_lshl_add_u32 v67, v2, 3, v38
	v_and_or_b32 v2, v7, s4, v66
	v_mov_b32_e32 v57, v27
	v_lshl_add_u32 v66, v2, 3, v38
	v_pk_add_f32 v[2:3], v[40:41], v[64:65] neg_lo:[0,1] neg_hi:[0,1]
	v_pk_add_f32 v[0:1], v[42:43], v[0:1] neg_lo:[0,1] neg_hi:[0,1]
	;; [unrolled: 1-line block ×3, first 2 shown]
	v_pk_fma_f32 v[4:5], v[40:41], 2.0, v[2:3] op_sel_hi:[1,0,1] neg_lo:[0,0,1] neg_hi:[0,0,1]
	v_pk_fma_f32 v[6:7], v[42:43], 2.0, v[0:1] op_sel_hi:[1,0,1] neg_lo:[0,0,1] neg_hi:[0,0,1]
	v_pk_add_f32 v[26:27], v[44:45], v[56:57] neg_lo:[0,1] neg_hi:[0,1]
	v_pk_fma_f32 v[40:41], v[46:47], 2.0, v[36:37] op_sel_hi:[1,0,1] neg_lo:[0,0,1] neg_hi:[0,0,1]
	v_pk_add_f32 v[42:43], v[48:49], v[60:61] neg_lo:[0,1] neg_hi:[0,1]
	v_pk_add_f32 v[46:47], v[50:51], v[62:63] neg_lo:[0,1] neg_hi:[0,1]
	v_pk_fma_f32 v[28:29], v[44:45], 2.0, v[26:27] op_sel_hi:[1,0,1] neg_lo:[0,0,1] neg_hi:[0,0,1]
	v_pk_fma_f32 v[44:45], v[48:49], 2.0, v[42:43] op_sel_hi:[1,0,1] neg_lo:[0,0,1] neg_hi:[0,0,1]
	;; [unrolled: 1-line block ×3, first 2 shown]
	ds_write2_b64 v52, v[48:49], v[46:47] offset1:2
	ds_write2_b64 v53, v[44:45], v[42:43] offset1:2
	;; [unrolled: 1-line block ×6, first 2 shown]
	v_and_b32_e32 v36, 3, v14
	v_mul_u32_u24_e32 v0, 6, v36
	v_lshlrev_b32_e32 v4, 3, v0
	s_waitcnt lgkmcnt(0)
	s_barrier
	global_load_dwordx4 v[26:29], v4, s[8:9] offset:16
	v_and_b32_e32 v37, 3, v12
	v_mul_u32_u24_e32 v0, 6, v37
	v_lshlrev_b32_e32 v5, 3, v0
	global_load_dwordx4 v[0:3], v5, s[8:9] offset:16
	global_load_dwordx4 v[40:43], v4, s[8:9] offset:48
	;; [unrolled: 1-line block ×5, first 2 shown]
	ds_read_b64 v[4:5], v33
	ds_read_b64 v[56:57], v35
	;; [unrolled: 1-line block ×4, first 2 shown]
	s_mov_b32 s4, 0xbee1c552
	s_waitcnt lgkmcnt(3)
	v_mov_b32_e32 v6, v5
	s_waitcnt vmcnt(5)
	v_pk_mul_f32 v[62:63], v[4:5], v[26:27] op_sel_hi:[0,1]
	v_pk_fma_f32 v[6:7], v[6:7], v[26:27], v[62:63] op_sel:[0,0,1] op_sel_hi:[1,1,0] neg_lo:[0,0,1] neg_hi:[0,0,1]
	v_pk_fma_f32 v[26:27], v[4:5], v[26:27], v[62:63] op_sel:[1,0,1] op_sel_hi:[1,1,0]
	ds_read_b64 v[62:63], v31
	s_waitcnt lgkmcnt(2)
	v_mov_b32_e32 v4, v59
	v_pk_mul_f32 v[64:65], v[58:59], v[28:29] op_sel_hi:[0,1]
	v_pk_fma_f32 v[4:5], v[4:5], v[28:29], v[64:65] op_sel:[0,0,1] op_sel_hi:[1,1,0] neg_lo:[0,0,1] neg_hi:[0,0,1]
	v_pk_fma_f32 v[28:29], v[58:59], v[28:29], v[64:65] op_sel:[1,0,1] op_sel_hi:[1,1,0]
	ds_read_b64 v[58:59], v23
	s_waitcnt lgkmcnt(1)
	v_mov_b32_e32 v26, v63
	s_waitcnt vmcnt(4)
	v_pk_mul_f32 v[64:65], v[0:1], v[62:63] op_sel_hi:[1,0]
	v_pk_mul_f32 v[68:69], v[2:3], v[60:61] op_sel_hi:[1,0]
	v_pk_fma_f32 v[66:67], v[0:1], v[26:27], v[64:65] op_sel:[0,0,1] op_sel_hi:[1,1,0] neg_lo:[0,0,1] neg_hi:[0,0,1]
	v_pk_fma_f32 v[62:63], v[0:1], v[62:63], v[64:65] op_sel:[0,1,1] op_sel_hi:[1,1,0]
	ds_read_b64 v[64:65], v15 offset:10192
	v_mov_b32_e32 v0, v61
	v_pk_fma_f32 v[70:71], v[2:3], v[0:1], v[68:69] op_sel:[0,0,1] op_sel_hi:[1,1,0] neg_lo:[0,0,1] neg_hi:[0,0,1]
	v_pk_fma_f32 v[60:61], v[2:3], v[60:61], v[68:69] op_sel:[0,1,1] op_sel_hi:[1,1,0]
	ds_read_b64 v[68:69], v17
	s_waitcnt lgkmcnt(1)
	v_mov_b32_e32 v0, v65
	s_waitcnt vmcnt(3)
	v_pk_mul_f32 v[2:3], v[64:65], v[42:43] op_sel_hi:[0,1]
	v_pk_fma_f32 v[72:73], v[0:1], v[42:43], v[2:3] op_sel:[0,0,1] op_sel_hi:[1,1,0] neg_lo:[0,0,1] neg_hi:[0,0,1]
	v_pk_fma_f32 v[64:65], v[64:65], v[42:43], v[2:3] op_sel:[1,0,1] op_sel_hi:[1,1,0]
	ds_read2_b64 v[0:3], v25 offset0:54 offset1:152
	v_mov_b32_e32 v67, v63
	v_mov_b32_e32 v71, v61
	;; [unrolled: 1-line block ×4, first 2 shown]
	s_waitcnt lgkmcnt(0)
	v_mov_b32_e32 v26, v1
	v_pk_mul_f32 v[42:43], v[0:1], v[40:41] op_sel_hi:[0,1]
	v_pk_fma_f32 v[74:75], v[26:27], v[40:41], v[42:43] op_sel:[0,0,1] op_sel_hi:[1,1,0] neg_lo:[0,0,1] neg_hi:[0,0,1]
	v_pk_fma_f32 v[76:77], v[0:1], v[40:41], v[42:43] op_sel:[1,0,1] op_sel_hi:[1,1,0]
	v_mov_b32_e32 v0, v3
	s_waitcnt vmcnt(2)
	v_pk_mul_f32 v[40:41], v[2:3], v[46:47] op_sel_hi:[0,1]
	v_pk_fma_f32 v[78:79], v[2:3], v[46:47], v[40:41] op_sel:[1,0,1] op_sel_hi:[1,1,0]
	v_pk_fma_f32 v[46:47], v[0:1], v[46:47], v[40:41] op_sel:[0,0,1] op_sel_hi:[1,1,0] neg_lo:[0,0,1] neg_hi:[0,0,1]
	ds_read2_b64 v[0:3], v21 offset0:114 offset1:212
	v_mov_b32_e32 v47, v79
	v_pk_add_f32 v[60:61], v[66:67], v[46:47] neg_lo:[0,1] neg_hi:[0,1]
	v_mov_b32_e32 v75, v77
	v_mov_b32_e32 v63, v61
	s_waitcnt lgkmcnt(0)
	v_mov_b32_e32 v26, v3
	v_pk_mul_f32 v[40:41], v[44:45], v[2:3] op_sel_hi:[1,0]
	s_waitcnt vmcnt(0)
	v_pk_mul_f32 v[86:87], v[0:1], v[54:55]
	v_pk_fma_f32 v[80:81], v[44:45], v[26:27], v[40:41] op_sel:[0,0,1] op_sel_hi:[1,1,0] neg_lo:[0,0,1] neg_hi:[0,0,1]
	v_pk_fma_f32 v[2:3], v[44:45], v[2:3], v[40:41] op_sel:[0,1,1] op_sel_hi:[1,1,0]
	ds_read2_b64 v[40:43], v39 offset0:46 offset1:144
	v_mul_f32_e32 v2, v49, v56
	v_fma_f32 v2, v48, v57, -v2
	v_mul_f32_e32 v44, v48, v56
	v_mul_f32_e32 v48, v49, v57
	s_waitcnt lgkmcnt(0)
	v_mul_f32_e32 v5, v51, v42
	v_fma_f32 v56, v50, v43, -v5
	v_mul_f32_e32 v42, v50, v42
	v_mul_f32_e32 v50, v51, v43
	v_mov_b32_e32 v26, v53
	v_pk_mul_f32 v[84:85], v[40:41], v[52:53] op_sel:[1,0] op_sel_hi:[0,1]
	v_mov_b32_e32 v43, v66
	v_mov_b32_e32 v51, v46
	v_mov_b32_e32 v45, v70
	v_mov_b32_e32 v49, v80
	v_pk_mul_f32 v[82:83], v[40:41], v[26:27] op_sel:[1,0] op_sel_hi:[0,1]
	v_mov_b32_e32 v26, v85
	v_pk_add_f32 v[42:43], v[42:43], v[50:51]
	v_pk_add_f32 v[44:45], v[44:45], v[48:49]
	v_pk_fma_f32 v[84:85], v[40:41], v[52:53], v[26:27] op_sel:[1,0,0] op_sel_hi:[0,1,1] neg_lo:[0,0,1] neg_hi:[0,0,1]
	v_pk_mul_f32 v[40:41], v[40:41], v[52:53]
	v_pk_mul_f32 v[52:53], v[0:1], v[54:55] op_sel:[1,0] op_sel_hi:[0,1]
	v_mov_b32_e32 v81, v3
	v_mov_b32_e32 v57, v42
	;; [unrolled: 1-line block ×4, first 2 shown]
	v_pk_add_f32 v[50:51], v[70:71], v[80:81] neg_lo:[0,1] neg_hi:[0,1]
	v_pk_add_f32 v[48:49], v[56:57], v[2:3] neg_lo:[0,1] neg_hi:[0,1]
	v_pk_fma_f32 v[52:53], v[0:1], v[54:55], v[26:27] op_sel:[1,0,0] op_sel_hi:[0,1,1] neg_lo:[0,0,1] neg_hi:[0,0,1]
	v_mov_b32_e32 v26, v55
	v_pk_add_f32 v[54:55], v[66:67], v[46:47]
	v_pk_add_f32 v[46:47], v[70:71], v[80:81]
	v_mov_b32_e32 v62, v48
	v_mov_b32_e32 v66, v50
	;; [unrolled: 1-line block ×3, first 2 shown]
	v_pk_add_f32 v[62:63], v[62:63], v[66:67] neg_lo:[0,1] neg_hi:[0,1]
	v_mov_b32_e32 v3, v2
	v_mov_b32_e32 v2, v47
	;; [unrolled: 1-line block ×7, first 2 shown]
	v_pk_add_f32 v[2:3], v[2:3], v[56:57]
	v_pk_mul_f32 v[56:57], v[62:63], s[22:23]
	v_pk_add_f32 v[62:63], v[44:45], v[42:43]
	v_pk_add_f32 v[66:67], v[66:67], v[70:71] neg_lo:[0,1] neg_hi:[0,1]
	v_mov_b32_e32 v42, v62
	v_mov_b32_e32 v70, v47
	v_mov_b32_e32 v71, v3
	v_pk_add_f32 v[70:71], v[42:43], v[70:71] neg_lo:[0,1] neg_hi:[0,1]
	v_mov_b32_e32 v44, v62
	v_pk_add_f32 v[62:63], v[2:3], v[62:63]
	v_mov_b32_e32 v2, v55
	v_pk_mul_f32 v[0:1], v[0:1], v[26:27] op_sel:[1,0] op_sel_hi:[0,1]
	v_pk_add_f32 v[2:3], v[2:3], v[44:45] neg_lo:[0,1] neg_hi:[0,1]
	v_pk_mul_f32 v[70:71], v[70:71], s[18:19]
	v_mov_b32_e32 v44, v47
	v_mov_b32_e32 v42, v55
	v_pk_fma_f32 v[78:79], v[2:3], s[16:17], v[70:71]
	v_lshrrev_b32_e32 v1, 2, v12
	v_pk_add_f32 v[42:43], v[44:45], v[42:43] neg_lo:[0,1] neg_hi:[0,1]
	v_pk_mul_f32 v[44:45], v[66:67], s[10:11]
	v_pk_mul_f32 v[2:3], v[2:3], s[16:17]
	v_pk_add_f32 v[48:49], v[48:49], v[50:51]
	v_pk_add_f32 v[68:69], v[62:63], v[68:69]
	v_pk_fma_f32 v[80:81], v[66:67], s[10:11], v[56:57]
	v_mul_u32_u24_e32 v1, 28, v1
	v_pk_add_f32 v[50:51], v[50:51], v[60:61] neg_lo:[0,1] neg_hi:[0,1]
	v_mov_b32_e32 v46, v2
	v_mov_b32_e32 v47, v71
	;; [unrolled: 1-line block ×6, first 2 shown]
	v_pk_add_f32 v[48:49], v[48:49], v[60:61]
	v_pk_fma_f32 v[62:63], v[62:63], s[14:15], v[68:69] op_sel_hi:[1,0,1] neg_lo:[1,0,0] neg_hi:[1,0,0]
	v_or_b32_e32 v1, v1, v37
	v_pk_fma_f32 v[46:47], v[42:43], s[20:21], v[46:47] op_sel_hi:[1,0,1] neg_lo:[1,0,1] neg_hi:[1,0,1]
	v_pk_fma_f32 v[54:55], v[50:51], s[12:13], v[54:55] op_sel_hi:[1,0,1] neg_lo:[1,0,1] neg_hi:[1,0,1]
	;; [unrolled: 1-line block ×4, first 2 shown]
	v_lshl_add_u32 v37, v1, 3, v38
	v_pk_add_f32 v[46:47], v[46:47], v[62:63]
	v_pk_fma_f32 v[54:55], v[48:49], s[4:5], v[54:55] op_sel_hi:[1,0,1]
	v_pk_add_f32 v[2:3], v[2:3], v[62:63]
	v_pk_fma_f32 v[42:43], v[48:49], s[4:5], v[42:43] op_sel_hi:[1,0,1]
	v_mov_b32_e32 v87, v6
	v_mov_b32_e32 v1, v72
	;; [unrolled: 1-line block ×4, first 2 shown]
	v_pk_add_f32 v[60:61], v[46:47], v[54:55]
	v_pk_add_f32 v[46:47], v[46:47], v[54:55] neg_lo:[0,1] neg_hi:[0,1]
	v_pk_add_f32 v[44:45], v[2:3], v[42:43] neg_lo:[0,1] neg_hi:[0,1]
	v_pk_add_f32 v[2:3], v[2:3], v[42:43]
	v_pk_add_f32 v[0:1], v[86:87], v[0:1]
	;; [unrolled: 1-line block ×3, first 2 shown]
	v_pk_fma_f32 v[80:81], v[48:49], s[4:5], v[80:81] op_sel_hi:[1,0,1]
	v_mov_b32_e32 v42, v60
	v_mov_b32_e32 v43, v47
	;; [unrolled: 1-line block ×7, first 2 shown]
	s_barrier
	ds_write2_b64 v37, v[42:43], v[48:49] offset0:8 offset1:12
	v_pk_add_f32 v[26:27], v[6:7], v[72:73]
	v_pk_add_f32 v[6:7], v[6:7], v[72:73] neg_lo:[0,1] neg_hi:[0,1]
	v_pk_add_f32 v[28:29], v[4:5], v[74:75]
	v_pk_add_f32 v[4:5], v[4:5], v[74:75] neg_lo:[0,1] neg_hi:[0,1]
	v_mov_b32_e32 v3, v45
	v_mov_b32_e32 v47, v61
	v_pk_add_f32 v[42:43], v[52:53], v[84:85] neg_lo:[0,1] neg_hi:[0,1]
	ds_write2_b64 v37, v[2:3], v[46:47] offset0:16 offset1:20
	v_mov_b32_e32 v2, v42
	v_mov_b32_e32 v3, v7
	;; [unrolled: 1-line block ×4, first 2 shown]
	v_pk_add_f32 v[2:3], v[2:3], v[44:45] neg_lo:[0,1] neg_hi:[0,1]
	v_mov_b32_e32 v44, v6
	v_mov_b32_e32 v46, v42
	;; [unrolled: 1-line block ×3, first 2 shown]
	v_pk_add_f32 v[44:45], v[44:45], v[46:47] neg_lo:[0,1] neg_hi:[0,1]
	v_mov_b32_e32 v46, v29
	v_mov_b32_e32 v47, v84
	;; [unrolled: 1-line block ×4, first 2 shown]
	v_pk_add_f32 v[46:47], v[46:47], v[48:49]
	v_pk_add_f32 v[48:49], v[40:41], v[0:1]
	v_mov_b32_e32 v50, v29
	v_mov_b32_e32 v0, v48
	v_mov_b32_e32 v51, v47
	v_pk_add_f32 v[50:51], v[0:1], v[50:51] neg_lo:[0,1] neg_hi:[0,1]
	v_mov_b32_e32 v52, v27
	v_mov_b32_e32 v53, v47
	;; [unrolled: 1-line block ×3, first 2 shown]
	v_pk_add_f32 v[46:47], v[46:47], v[48:49]
	v_pk_mul_f32 v[2:3], v[2:3], s[22:23]
	v_pk_add_f32 v[42:43], v[42:43], v[4:5]
	v_pk_add_f32 v[52:53], v[52:53], v[40:41] neg_lo:[0,1] neg_hi:[0,1]
	v_pk_add_f32 v[48:49], v[46:47], v[58:59]
	v_pk_mul_f32 v[50:51], v[50:51], s[18:19]
	v_pk_add_f32 v[78:79], v[78:79], v[62:63]
	v_pk_add_f32 v[42:43], v[42:43], v[6:7]
	v_pk_fma_f32 v[46:47], v[46:47], s[14:15], v[48:49] op_sel_hi:[1,0,1] neg_lo:[1,0,0] neg_hi:[1,0,0]
	v_pk_fma_f32 v[54:55], v[52:53], s[16:17], v[50:51]
	v_pk_fma_f32 v[56:57], v[44:45], s[10:11], v[2:3]
	v_lshrrev_b32_e32 v0, 2, v14
	v_pk_add_f32 v[88:89], v[78:79], v[80:81]
	v_pk_add_f32 v[78:79], v[78:79], v[80:81] neg_lo:[0,1] neg_hi:[0,1]
	v_pk_add_f32 v[54:55], v[54:55], v[46:47]
	v_pk_fma_f32 v[56:57], v[42:43], s[4:5], v[56:57] op_sel_hi:[1,0,1]
	v_mul_lo_u32 v0, v0, 28
	v_mov_b32_e32 v80, v88
	v_mov_b32_e32 v81, v79
	v_mov_b32_e32 v79, v89
	v_pk_add_f32 v[58:59], v[54:55], v[56:57]
	v_pk_add_f32 v[54:55], v[54:55], v[56:57] neg_lo:[0,1] neg_hi:[0,1]
	v_or_b32_e32 v0, v0, v36
	ds_write2_b64 v37, v[68:69], v[80:81] offset1:4
	ds_write_b64 v37, v[78:79] offset:192
	v_lshl_add_u32 v56, v0, 3, v38
	v_mov_b32_e32 v36, v58
	v_mov_b32_e32 v37, v55
	ds_write2_b64 v56, v[48:49], v[36:37] offset1:4
	v_pk_mul_f32 v[36:37], v[44:45], s[10:11]
	v_pk_mul_f32 v[44:45], v[52:53], s[16:17]
	v_mov_b32_e32 v40, v29
	v_mov_b32_e32 v0, v27
	v_pk_add_f32 v[4:5], v[4:5], v[6:7] neg_lo:[0,1] neg_hi:[0,1]
	v_pk_add_f32 v[0:1], v[40:41], v[0:1] neg_lo:[0,1] neg_hi:[0,1]
	v_mov_b32_e32 v6, v44
	v_mov_b32_e32 v7, v51
	;; [unrolled: 1-line block ×6, first 2 shown]
	v_pk_fma_f32 v[6:7], v[0:1], s[20:21], v[6:7] op_sel_hi:[1,0,1] neg_lo:[1,0,1] neg_hi:[1,0,1]
	v_pk_fma_f32 v[26:27], v[4:5], s[12:13], v[26:27] op_sel_hi:[1,0,1] neg_lo:[1,0,1] neg_hi:[1,0,1]
	;; [unrolled: 1-line block ×4, first 2 shown]
	v_pk_add_f32 v[6:7], v[6:7], v[46:47]
	v_pk_fma_f32 v[26:27], v[42:43], s[4:5], v[26:27] op_sel_hi:[1,0,1]
	v_pk_add_f32 v[0:1], v[0:1], v[46:47]
	v_pk_fma_f32 v[2:3], v[42:43], s[4:5], v[2:3] op_sel_hi:[1,0,1]
	v_pk_add_f32 v[28:29], v[6:7], v[26:27]
	v_pk_add_f32 v[6:7], v[6:7], v[26:27] neg_lo:[0,1] neg_hi:[0,1]
	v_pk_add_f32 v[4:5], v[0:1], v[2:3] neg_lo:[0,1] neg_hi:[0,1]
	v_pk_add_f32 v[0:1], v[0:1], v[2:3]
	v_mov_b32_e32 v27, v7
	v_mov_b32_e32 v3, v1
	;; [unrolled: 1-line block ×4, first 2 shown]
	ds_write2_b64 v56, v[0:1], v[6:7] offset0:16 offset1:20
	v_lshrrev_b16_e32 v1, 2, v14
	v_and_b32_e32 v1, 63, v1
	v_mul_lo_u16_e32 v1, 37, v1
	v_lshrrev_b16_e32 v88, 8, v1
	v_mul_lo_u16_e32 v1, 28, v88
	v_mov_b32_e32 v0, 6
	v_sub_u16_e32 v89, v14, v1
	v_mul_u32_u24_sdwa v1, v89, v0 dst_sel:DWORD dst_unused:UNUSED_PAD src0_sel:BYTE_0 src1_sel:DWORD
	v_mov_b32_e32 v26, v28
	v_mov_b32_e32 v2, v4
	;; [unrolled: 1-line block ×3, first 2 shown]
	v_lshlrev_b32_e32 v4, 3, v1
	ds_write2_b64 v56, v[26:27], v[2:3] offset0:8 offset1:12
	ds_write_b64 v56, v[54:55] offset:192
	s_waitcnt lgkmcnt(0)
	s_barrier
	global_load_dwordx4 v[26:29], v4, s[8:9] offset:208
	v_lshrrev_b16_e32 v1, 2, v12
	v_and_b32_e32 v1, 63, v1
	v_mul_lo_u16_e32 v1, 37, v1
	v_lshrrev_b16_e32 v90, 8, v1
	v_mul_lo_u16_e32 v1, 28, v90
	v_sub_u16_e32 v91, v12, v1
	v_mul_u32_u24_sdwa v0, v91, v0 dst_sel:DWORD dst_unused:UNUSED_PAD src0_sel:BYTE_0 src1_sel:DWORD
	v_lshlrev_b32_e32 v5, 3, v0
	global_load_dwordx4 v[0:3], v5, s[8:9] offset:208
	global_load_dwordx4 v[40:43], v4, s[8:9] offset:240
	;; [unrolled: 1-line block ×5, first 2 shown]
	ds_read_b64 v[4:5], v33
	ds_read_b64 v[36:37], v35
	;; [unrolled: 1-line block ×4, first 2 shown]
	s_waitcnt lgkmcnt(3)
	v_mov_b32_e32 v6, v5
	s_waitcnt vmcnt(5)
	v_pk_mul_f32 v[60:61], v[4:5], v[26:27] op_sel_hi:[0,1]
	v_pk_fma_f32 v[6:7], v[6:7], v[26:27], v[60:61] op_sel:[0,0,1] op_sel_hi:[1,1,0] neg_lo:[0,0,1] neg_hi:[0,0,1]
	v_pk_fma_f32 v[26:27], v[4:5], v[26:27], v[60:61] op_sel:[1,0,1] op_sel_hi:[1,1,0]
	ds_read_b64 v[60:61], v31
	s_waitcnt lgkmcnt(2)
	v_mov_b32_e32 v4, v57
	v_pk_mul_f32 v[62:63], v[56:57], v[28:29] op_sel_hi:[0,1]
	v_pk_fma_f32 v[4:5], v[4:5], v[28:29], v[62:63] op_sel:[0,0,1] op_sel_hi:[1,1,0] neg_lo:[0,0,1] neg_hi:[0,0,1]
	v_pk_fma_f32 v[28:29], v[56:57], v[28:29], v[62:63] op_sel:[1,0,1] op_sel_hi:[1,1,0]
	ds_read_b64 v[56:57], v23
	s_waitcnt lgkmcnt(1)
	v_mov_b32_e32 v26, v61
	s_waitcnt vmcnt(4)
	v_pk_mul_f32 v[62:63], v[0:1], v[60:61] op_sel_hi:[1,0]
	s_nop 0
	v_pk_fma_f32 v[64:65], v[0:1], v[26:27], v[62:63] op_sel:[0,0,1] op_sel_hi:[1,1,0] neg_lo:[0,0,1] neg_hi:[0,0,1]
	v_pk_fma_f32 v[60:61], v[0:1], v[60:61], v[62:63] op_sel:[0,1,1] op_sel_hi:[1,1,0]
	v_mov_b32_e32 v0, v59
	v_pk_mul_f32 v[62:63], v[2:3], v[58:59] op_sel_hi:[1,0]
	v_mov_b32_e32 v65, v61
	v_pk_fma_f32 v[66:67], v[2:3], v[0:1], v[62:63] op_sel:[0,0,1] op_sel_hi:[1,1,0] neg_lo:[0,0,1] neg_hi:[0,0,1]
	v_pk_fma_f32 v[58:59], v[2:3], v[58:59], v[62:63] op_sel:[0,1,1] op_sel_hi:[1,1,0]
	ds_read_b64 v[0:1], v15 offset:10192
	ds_read_b64 v[62:63], v17
	v_mov_b32_e32 v67, v59
	s_waitcnt lgkmcnt(1)
	v_mov_b32_e32 v2, v1
	s_waitcnt vmcnt(3)
	v_pk_mul_f32 v[68:69], v[0:1], v[42:43] op_sel_hi:[0,1]
	v_pk_fma_f32 v[70:71], v[2:3], v[42:43], v[68:69] op_sel:[0,0,1] op_sel_hi:[1,1,0] neg_lo:[0,0,1] neg_hi:[0,0,1]
	v_pk_fma_f32 v[68:69], v[0:1], v[42:43], v[68:69] op_sel:[1,0,1] op_sel_hi:[1,1,0]
	ds_read2_b64 v[0:3], v25 offset0:54 offset1:152
	v_mov_b32_e32 v71, v69
	s_waitcnt lgkmcnt(0)
	v_mov_b32_e32 v26, v1
	v_pk_mul_f32 v[42:43], v[0:1], v[40:41] op_sel_hi:[0,1]
	v_pk_fma_f32 v[72:73], v[26:27], v[40:41], v[42:43] op_sel:[0,0,1] op_sel_hi:[1,1,0] neg_lo:[0,0,1] neg_hi:[0,0,1]
	v_pk_fma_f32 v[74:75], v[0:1], v[40:41], v[42:43] op_sel:[1,0,1] op_sel_hi:[1,1,0]
	v_mov_b32_e32 v0, v3
	s_waitcnt vmcnt(2)
	v_pk_mul_f32 v[40:41], v[2:3], v[46:47] op_sel_hi:[0,1]
	v_pk_fma_f32 v[76:77], v[2:3], v[46:47], v[40:41] op_sel:[1,0,1] op_sel_hi:[1,1,0]
	v_pk_fma_f32 v[46:47], v[0:1], v[46:47], v[40:41] op_sel:[0,0,1] op_sel_hi:[1,1,0] neg_lo:[0,0,1] neg_hi:[0,0,1]
	ds_read2_b64 v[0:3], v21 offset0:114 offset1:212
	v_mov_b32_e32 v47, v77
	v_pk_add_f32 v[58:59], v[64:65], v[46:47] neg_lo:[0,1] neg_hi:[0,1]
	v_mov_b32_e32 v73, v75
	v_mov_b32_e32 v61, v59
	s_waitcnt lgkmcnt(0)
	v_mov_b32_e32 v26, v3
	v_pk_mul_f32 v[40:41], v[44:45], v[2:3] op_sel_hi:[1,0]
	s_waitcnt vmcnt(0)
	v_pk_mul_f32 v[84:85], v[0:1], v[54:55]
	v_pk_fma_f32 v[78:79], v[44:45], v[26:27], v[40:41] op_sel:[0,0,1] op_sel_hi:[1,1,0] neg_lo:[0,0,1] neg_hi:[0,0,1]
	v_pk_fma_f32 v[2:3], v[44:45], v[2:3], v[40:41] op_sel:[0,1,1] op_sel_hi:[1,1,0]
	ds_read2_b64 v[40:43], v39 offset0:46 offset1:144
	v_mul_f32_e32 v2, v49, v36
	v_fma_f32 v2, v48, v37, -v2
	v_mul_f32_e32 v36, v48, v36
	v_mul_f32_e32 v44, v49, v37
	s_waitcnt lgkmcnt(0)
	v_mul_f32_e32 v5, v51, v42
	v_fma_f32 v48, v50, v43, -v5
	v_mul_f32_e32 v42, v50, v42
	v_mul_f32_e32 v50, v51, v43
	v_mov_b32_e32 v26, v53
	v_pk_mul_f32 v[82:83], v[40:41], v[52:53] op_sel:[1,0] op_sel_hi:[0,1]
	v_mov_b32_e32 v43, v64
	v_mov_b32_e32 v51, v46
	;; [unrolled: 1-line block ×4, first 2 shown]
	v_pk_mul_f32 v[80:81], v[40:41], v[26:27] op_sel:[1,0] op_sel_hi:[0,1]
	v_mov_b32_e32 v26, v83
	v_pk_add_f32 v[42:43], v[42:43], v[50:51]
	v_pk_add_f32 v[36:37], v[36:37], v[44:45]
	v_pk_fma_f32 v[82:83], v[40:41], v[52:53], v[26:27] op_sel:[1,0,0] op_sel_hi:[0,1,1] neg_lo:[0,0,1] neg_hi:[0,0,1]
	v_pk_mul_f32 v[40:41], v[40:41], v[52:53]
	v_pk_mul_f32 v[52:53], v[0:1], v[54:55] op_sel:[1,0] op_sel_hi:[0,1]
	v_mov_b32_e32 v79, v3
	v_mov_b32_e32 v49, v42
	;; [unrolled: 1-line block ×4, first 2 shown]
	v_pk_add_f32 v[50:51], v[66:67], v[78:79] neg_lo:[0,1] neg_hi:[0,1]
	v_pk_add_f32 v[44:45], v[48:49], v[2:3] neg_lo:[0,1] neg_hi:[0,1]
	v_pk_fma_f32 v[52:53], v[0:1], v[54:55], v[26:27] op_sel:[1,0,0] op_sel_hi:[0,1,1] neg_lo:[0,0,1] neg_hi:[0,0,1]
	v_mov_b32_e32 v26, v55
	v_pk_add_f32 v[54:55], v[64:65], v[46:47]
	v_pk_add_f32 v[46:47], v[66:67], v[78:79]
	v_mov_b32_e32 v60, v44
	v_mov_b32_e32 v64, v50
	;; [unrolled: 1-line block ×3, first 2 shown]
	v_pk_add_f32 v[60:61], v[60:61], v[64:65] neg_lo:[0,1] neg_hi:[0,1]
	v_mov_b32_e32 v3, v2
	v_mov_b32_e32 v2, v47
	;; [unrolled: 1-line block ×7, first 2 shown]
	v_pk_add_f32 v[2:3], v[2:3], v[48:49]
	v_pk_mul_f32 v[48:49], v[60:61], s[22:23]
	v_pk_add_f32 v[60:61], v[36:37], v[42:43]
	v_pk_add_f32 v[64:65], v[64:65], v[66:67] neg_lo:[0,1] neg_hi:[0,1]
	v_mov_b32_e32 v42, v60
	v_mov_b32_e32 v66, v47
	;; [unrolled: 1-line block ×3, first 2 shown]
	v_pk_add_f32 v[66:67], v[42:43], v[66:67] neg_lo:[0,1] neg_hi:[0,1]
	v_mov_b32_e32 v36, v60
	v_pk_add_f32 v[60:61], v[2:3], v[60:61]
	v_mov_b32_e32 v2, v55
	v_pk_add_f32 v[2:3], v[2:3], v[36:37] neg_lo:[0,1] neg_hi:[0,1]
	v_pk_mul_f32 v[66:67], v[66:67], s[18:19]
	v_mov_b32_e32 v36, v47
	v_mov_b32_e32 v42, v55
	v_pk_add_f32 v[44:45], v[44:45], v[50:51]
	v_pk_fma_f32 v[76:77], v[2:3], s[16:17], v[66:67]
	v_pk_add_f32 v[36:37], v[36:37], v[42:43] neg_lo:[0,1] neg_hi:[0,1]
	v_pk_mul_f32 v[42:43], v[64:65], s[10:11]
	v_pk_mul_f32 v[2:3], v[2:3], s[16:17]
	v_pk_add_f32 v[44:45], v[44:45], v[58:59]
	v_pk_add_f32 v[62:63], v[60:61], v[62:63]
	v_pk_fma_f32 v[78:79], v[64:65], s[10:11], v[48:49]
	v_pk_add_f32 v[50:51], v[50:51], v[58:59] neg_lo:[0,1] neg_hi:[0,1]
	v_mov_b32_e32 v46, v2
	v_mov_b32_e32 v47, v67
	;; [unrolled: 1-line block ×5, first 2 shown]
	v_pk_fma_f32 v[60:61], v[60:61], s[14:15], v[62:63] op_sel_hi:[1,0,1] neg_lo:[1,0,0] neg_hi:[1,0,0]
	v_pk_fma_f32 v[78:79], v[44:45], s[4:5], v[78:79] op_sel_hi:[1,0,1]
	s_movk_i32 s5, 0x620
	v_pk_fma_f32 v[46:47], v[36:37], s[20:21], v[46:47] op_sel_hi:[1,0,1] neg_lo:[1,0,1] neg_hi:[1,0,1]
	v_mov_b32_e32 v54, v42
	v_pk_fma_f32 v[2:3], v[36:37], s[20:21], v[66:67] op_sel_hi:[1,0,1] neg_lo:[0,0,1] neg_hi:[0,0,1]
	v_pk_fma_f32 v[36:37], v[50:51], s[12:13], v[48:49] op_sel_hi:[1,0,1] neg_lo:[0,0,1] neg_hi:[0,0,1]
	v_pk_mul_f32 v[0:1], v[0:1], v[26:27] op_sel:[1,0] op_sel_hi:[0,1]
	v_mov_b32_e32 v5, 3
	v_pk_fma_f32 v[54:55], v[50:51], s[12:13], v[54:55] op_sel_hi:[1,0,1] neg_lo:[1,0,1] neg_hi:[1,0,1]
	v_pk_add_f32 v[2:3], v[2:3], v[60:61]
	v_pk_fma_f32 v[36:37], v[44:45], s[4:5], v[36:37] op_sel_hi:[1,0,1]
	v_mad_u32_u24 v1, v90, s5, 0
	v_lshlrev_b32_sdwa v7, v5, v91 dst_sel:DWORD dst_unused:UNUSED_PAD src0_sel:DWORD src1_sel:BYTE_0
	v_pk_add_f32 v[46:47], v[46:47], v[60:61]
	v_pk_fma_f32 v[54:55], v[44:45], s[4:5], v[54:55] op_sel_hi:[1,0,1]
	v_pk_add_f32 v[42:43], v[2:3], v[36:37] neg_lo:[0,1] neg_hi:[0,1]
	v_pk_add_f32 v[2:3], v[2:3], v[36:37]
	v_add3_u32 v68, v1, v7, v30
	v_pk_add_f32 v[58:59], v[46:47], v[54:55]
	v_pk_add_f32 v[46:47], v[46:47], v[54:55] neg_lo:[0,1] neg_hi:[0,1]
	v_mov_b32_e32 v45, v3
	v_lshlrev_b32_sdwa v1, v5, v89 dst_sel:DWORD dst_unused:UNUSED_PAD src0_sel:DWORD src1_sel:BYTE_0
	v_mad_u32_u24 v3, v88, s5, 0
	v_mov_b32_e32 v36, v58
	v_mov_b32_e32 v37, v47
	v_mov_b32_e32 v44, v42
	v_add3_u32 v30, v3, v1, v30
	v_mov_b32_e32 v85, v6
	v_mov_b32_e32 v1, v70
	;; [unrolled: 1-line block ×4, first 2 shown]
	s_barrier
	ds_write2_b64 v68, v[36:37], v[44:45] offset0:56 offset1:84
	v_pk_add_f32 v[0:1], v[84:85], v[0:1]
	v_pk_add_f32 v[36:37], v[40:41], v[80:81]
	v_mov_b32_e32 v7, v27
	v_mov_b32_e32 v5, v29
	;; [unrolled: 1-line block ×4, first 2 shown]
	v_pk_add_f32 v[26:27], v[6:7], v[70:71]
	v_pk_add_f32 v[6:7], v[6:7], v[70:71] neg_lo:[0,1] neg_hi:[0,1]
	v_pk_add_f32 v[28:29], v[4:5], v[72:73]
	v_pk_add_f32 v[4:5], v[4:5], v[72:73] neg_lo:[0,1] neg_hi:[0,1]
	v_pk_add_f32 v[40:41], v[52:53], v[82:83] neg_lo:[0,1] neg_hi:[0,1]
	v_mov_b32_e32 v45, v7
	v_mov_b32_e32 v44, v40
	;; [unrolled: 1-line block ×4, first 2 shown]
	v_pk_add_f32 v[44:45], v[44:45], v[48:49] neg_lo:[0,1] neg_hi:[0,1]
	v_mov_b32_e32 v3, v43
	v_mov_b32_e32 v47, v59
	v_pk_mul_f32 v[42:43], v[44:45], s[22:23]
	ds_write2_b64 v68, v[2:3], v[46:47] offset0:112 offset1:140
	v_mov_b32_e32 v2, v6
	v_mov_b32_e32 v3, v41
	;; [unrolled: 1-line block ×4, first 2 shown]
	v_pk_add_f32 v[2:3], v[2:3], v[44:45] neg_lo:[0,1] neg_hi:[0,1]
	v_mov_b32_e32 v44, v29
	v_mov_b32_e32 v45, v82
	;; [unrolled: 1-line block ×4, first 2 shown]
	v_pk_add_f32 v[44:45], v[44:45], v[46:47]
	v_pk_add_f32 v[46:47], v[36:37], v[0:1]
	v_mov_b32_e32 v48, v29
	v_mov_b32_e32 v0, v46
	;; [unrolled: 1-line block ×3, first 2 shown]
	v_pk_add_f32 v[48:49], v[0:1], v[48:49] neg_lo:[0,1] neg_hi:[0,1]
	v_mov_b32_e32 v50, v27
	v_mov_b32_e32 v51, v45
	;; [unrolled: 1-line block ×3, first 2 shown]
	v_pk_add_f32 v[44:45], v[44:45], v[46:47]
	v_pk_add_f32 v[40:41], v[40:41], v[4:5]
	v_pk_add_f32 v[50:51], v[50:51], v[36:37] neg_lo:[0,1] neg_hi:[0,1]
	v_pk_add_f32 v[46:47], v[44:45], v[56:57]
	v_pk_mul_f32 v[48:49], v[48:49], s[18:19]
	v_pk_add_f32 v[40:41], v[40:41], v[6:7]
	v_pk_fma_f32 v[44:45], v[44:45], s[14:15], v[46:47] op_sel_hi:[1,0,1] neg_lo:[1,0,0] neg_hi:[1,0,0]
	v_pk_fma_f32 v[52:53], v[50:51], s[16:17], v[48:49]
	v_pk_fma_f32 v[54:55], v[2:3], s[10:11], v[42:43]
	v_pk_add_f32 v[76:77], v[76:77], v[60:61]
	v_pk_add_f32 v[52:53], v[52:53], v[44:45]
	v_pk_fma_f32 v[54:55], v[40:41], s[4:5], v[54:55] op_sel_hi:[1,0,1]
	v_pk_add_f32 v[86:87], v[76:77], v[78:79]
	v_pk_add_f32 v[76:77], v[76:77], v[78:79] neg_lo:[0,1] neg_hi:[0,1]
	v_pk_add_f32 v[56:57], v[52:53], v[54:55]
	v_pk_add_f32 v[52:53], v[52:53], v[54:55] neg_lo:[0,1] neg_hi:[0,1]
	v_mov_b32_e32 v78, v86
	v_mov_b32_e32 v79, v77
	;; [unrolled: 1-line block ×5, first 2 shown]
	ds_write2_b64 v68, v[62:63], v[78:79] offset1:28
	ds_write_b64 v68, v[76:77] offset:1344
	ds_write2_b64 v30, v[46:47], v[54:55] offset1:28
	v_pk_mul_f32 v[2:3], v[2:3], s[10:11]
	v_pk_mul_f32 v[46:47], v[50:51], s[16:17]
	v_mov_b32_e32 v36, v29
	v_mov_b32_e32 v0, v27
	v_pk_add_f32 v[4:5], v[4:5], v[6:7] neg_lo:[0,1] neg_hi:[0,1]
	v_pk_add_f32 v[0:1], v[36:37], v[0:1] neg_lo:[0,1] neg_hi:[0,1]
	v_mov_b32_e32 v6, v46
	v_mov_b32_e32 v7, v49
	v_mov_b32_e32 v26, v2
	v_mov_b32_e32 v27, v43
	v_mov_b32_e32 v49, v47
	v_mov_b32_e32 v43, v3
	v_pk_fma_f32 v[6:7], v[0:1], s[20:21], v[6:7] op_sel_hi:[1,0,1] neg_lo:[1,0,1] neg_hi:[1,0,1]
	v_pk_fma_f32 v[26:27], v[4:5], s[12:13], v[26:27] op_sel_hi:[1,0,1] neg_lo:[1,0,1] neg_hi:[1,0,1]
	;; [unrolled: 1-line block ×4, first 2 shown]
	v_pk_add_f32 v[6:7], v[6:7], v[44:45]
	v_pk_fma_f32 v[26:27], v[40:41], s[4:5], v[26:27] op_sel_hi:[1,0,1]
	v_pk_add_f32 v[0:1], v[0:1], v[44:45]
	v_pk_fma_f32 v[2:3], v[40:41], s[4:5], v[2:3] op_sel_hi:[1,0,1]
	v_pk_add_f32 v[28:29], v[6:7], v[26:27]
	v_pk_add_f32 v[6:7], v[6:7], v[26:27] neg_lo:[0,1] neg_hi:[0,1]
	v_pk_add_f32 v[4:5], v[0:1], v[2:3] neg_lo:[0,1] neg_hi:[0,1]
	v_pk_add_f32 v[0:1], v[0:1], v[2:3]
	v_mov_b32_e32 v26, v28
	v_mov_b32_e32 v27, v7
	;; [unrolled: 1-line block ×4, first 2 shown]
	ds_write2_b64 v30, v[26:27], v[2:3] offset0:56 offset1:84
	v_mul_i32_i24_e32 v26, 6, v14
	v_mov_b32_e32 v27, 0
	v_mov_b32_e32 v1, v5
	;; [unrolled: 1-line block ×4, first 2 shown]
	v_lshl_add_u64 v[28:29], v[26:27], 3, s[8:9]
	ds_write2_b64 v30, v[0:1], v[6:7] offset0:112 offset1:140
	ds_write_b64 v30, v[52:53] offset:1344
	s_waitcnt lgkmcnt(0)
	s_barrier
	global_load_dwordx4 v[40:43], v[28:29], off offset:1552
	v_mul_u32_u24_e32 v0, 6, v12
	v_lshlrev_b32_e32 v26, 3, v0
	global_load_dwordx4 v[4:7], v26, s[8:9] offset:1552
	global_load_dwordx4 v[0:3], v[28:29], off offset:1584
	global_load_dwordx4 v[44:47], v26, s[8:9] offset:1584
	global_load_dwordx4 v[48:51], v26, s[8:9] offset:1568
	ds_read_b64 v[36:37], v33
	ds_read_b64 v[52:53], v35
	;; [unrolled: 1-line block ×4, first 2 shown]
	ds_read_b64 v[62:63], v15 offset:10192
	s_waitcnt lgkmcnt(4)
	v_mov_b32_e32 v26, v37
	s_waitcnt vmcnt(4)
	v_pk_mul_f32 v[34:35], v[36:37], v[40:41] op_sel_hi:[0,1]
	v_pk_fma_f32 v[32:33], v[26:27], v[40:41], v[34:35] op_sel:[0,0,1] op_sel_hi:[1,1,0] neg_lo:[0,0,1] neg_hi:[0,0,1]
	v_pk_fma_f32 v[34:35], v[36:37], v[40:41], v[34:35] op_sel:[1,0,1] op_sel_hi:[1,1,0]
	ds_read_b64 v[40:41], v31
	s_waitcnt lgkmcnt(3)
	v_mov_b32_e32 v26, v55
	v_pk_mul_f32 v[36:37], v[54:55], v[42:43] op_sel_hi:[0,1]
	v_pk_fma_f32 v[30:31], v[26:27], v[42:43], v[36:37] op_sel:[0,0,1] op_sel_hi:[1,1,0] neg_lo:[0,0,1] neg_hi:[0,0,1]
	v_pk_fma_f32 v[36:37], v[54:55], v[42:43], v[36:37] op_sel:[1,0,1] op_sel_hi:[1,1,0]
	s_waitcnt lgkmcnt(0)
	v_mov_b32_e32 v26, v41
	s_waitcnt vmcnt(3)
	v_pk_mul_f32 v[42:43], v[4:5], v[40:41] op_sel_hi:[1,0]
	ds_read_b64 v[54:55], v23
	v_pk_fma_f32 v[58:59], v[4:5], v[26:27], v[42:43] op_sel:[0,0,1] op_sel_hi:[1,1,0] neg_lo:[0,0,1] neg_hi:[0,0,1]
	v_pk_fma_f32 v[60:61], v[4:5], v[40:41], v[42:43] op_sel:[0,1,1] op_sel_hi:[1,1,0]
	v_mov_b32_e32 v4, v57
	v_pk_mul_f32 v[40:41], v[6:7], v[56:57] op_sel_hi:[1,0]
	v_mov_b32_e32 v26, v63
	v_pk_fma_f32 v[64:65], v[6:7], v[4:5], v[40:41] op_sel:[0,0,1] op_sel_hi:[1,1,0] neg_lo:[0,0,1] neg_hi:[0,0,1]
	v_pk_fma_f32 v[56:57], v[6:7], v[56:57], v[40:41] op_sel:[0,1,1] op_sel_hi:[1,1,0]
	ds_read2_b64 v[4:7], v25 offset0:54 offset1:152
	ds_read_b64 v[66:67], v17
	global_load_dwordx4 v[40:43], v[28:29], off offset:1568
	s_waitcnt vmcnt(3)
	v_pk_mul_f32 v[28:29], v[62:63], v[2:3] op_sel_hi:[0,1]
	v_pk_fma_f32 v[68:69], v[26:27], v[2:3], v[28:29] op_sel:[0,0,1] op_sel_hi:[1,1,0] neg_lo:[0,0,1] neg_hi:[0,0,1]
	v_pk_fma_f32 v[28:29], v[62:63], v[2:3], v[28:29] op_sel:[1,0,1] op_sel_hi:[1,1,0]
	s_waitcnt lgkmcnt(1)
	v_mov_b32_e32 v2, v5
	v_pk_mul_f32 v[62:63], v[4:5], v[0:1] op_sel_hi:[0,1]
	v_pk_fma_f32 v[70:71], v[2:3], v[0:1], v[62:63] op_sel:[0,0,1] op_sel_hi:[1,1,0] neg_lo:[0,0,1] neg_hi:[0,0,1]
	v_pk_fma_f32 v[62:63], v[4:5], v[0:1], v[62:63] op_sel:[1,0,1] op_sel_hi:[1,1,0]
	ds_read2_b64 v[0:3], v21 offset0:114 offset1:212
	v_mov_b32_e32 v4, v7
	s_waitcnt vmcnt(2)
	v_pk_mul_f32 v[72:73], v[6:7], v[46:47] op_sel_hi:[0,1]
	v_pk_fma_f32 v[6:7], v[6:7], v[46:47], v[72:73] op_sel:[1,0,1] op_sel_hi:[1,1,0]
	v_pk_fma_f32 v[46:47], v[4:5], v[46:47], v[72:73] op_sel:[0,0,1] op_sel_hi:[1,1,0] neg_lo:[0,0,1] neg_hi:[0,0,1]
	s_waitcnt lgkmcnt(0)
	v_mov_b32_e32 v4, v3
	v_pk_mul_f32 v[72:73], v[44:45], v[2:3] op_sel_hi:[1,0]
	v_mov_b32_e32 v59, v61
	v_pk_fma_f32 v[74:75], v[44:45], v[4:5], v[72:73] op_sel:[0,0,1] op_sel_hi:[1,1,0] neg_lo:[0,0,1] neg_hi:[0,0,1]
	v_pk_fma_f32 v[44:45], v[44:45], v[2:3], v[72:73] op_sel:[0,1,1] op_sel_hi:[1,1,0]
	s_waitcnt vmcnt(1)
	v_mul_f32_e32 v2, v49, v52
	v_fma_f32 v6, v48, v53, -v2
	ds_read2_b64 v[2:5], v39 offset0:46 offset1:144
	v_mul_f32_e32 v44, v48, v52
	v_mul_f32_e32 v48, v49, v53
	v_mov_b32_e32 v75, v45
	v_mov_b32_e32 v45, v64
	s_waitcnt lgkmcnt(0)
	v_mul_f32_e32 v25, v51, v4
	v_fma_f32 v52, v50, v5, -v25
	v_mul_f32_e32 v4, v50, v4
	v_mul_f32_e32 v50, v51, v5
	v_mov_b32_e32 v5, v58
	v_mov_b32_e32 v51, v46
	;; [unrolled: 1-line block ×5, first 2 shown]
	v_pk_add_f32 v[4:5], v[4:5], v[50:51]
	v_pk_add_f32 v[44:45], v[44:45], v[48:49]
	;; [unrolled: 1-line block ×3, first 2 shown]
	v_pk_add_f32 v[58:59], v[58:59], v[46:47] neg_lo:[0,1] neg_hi:[0,1]
	v_pk_add_f32 v[46:47], v[64:65], v[74:75]
	v_mov_b32_e32 v53, v4
	v_mov_b32_e32 v7, v44
	v_pk_add_f32 v[50:51], v[64:65], v[74:75] neg_lo:[0,1] neg_hi:[0,1]
	v_pk_add_f32 v[48:49], v[52:53], v[6:7] neg_lo:[0,1] neg_hi:[0,1]
	v_mov_b32_e32 v7, v6
	v_mov_b32_e32 v6, v47
	;; [unrolled: 1-line block ×9, first 2 shown]
	v_pk_add_f32 v[6:7], v[6:7], v[52:53]
	v_pk_add_f32 v[48:49], v[48:49], v[50:51]
	;; [unrolled: 1-line block ×3, first 2 shown]
	v_pk_add_f32 v[60:61], v[60:61], v[64:65] neg_lo:[0,1] neg_hi:[0,1]
	v_mov_b32_e32 v64, v58
	v_mov_b32_e32 v73, v51
	v_pk_add_f32 v[48:49], v[48:49], v[58:59]
	v_pk_add_f32 v[50:51], v[50:51], v[58:59] neg_lo:[0,1] neg_hi:[0,1]
	v_mov_b32_e32 v4, v52
	v_mov_b32_e32 v58, v47
	;; [unrolled: 1-line block ×4, first 2 shown]
	v_pk_add_f32 v[52:53], v[6:7], v[52:53]
	v_mov_b32_e32 v6, v57
	v_pk_add_f32 v[6:7], v[6:7], v[44:45] neg_lo:[0,1] neg_hi:[0,1]
	v_mov_b32_e32 v44, v47
	v_pk_add_f32 v[46:47], v[4:5], v[58:59] neg_lo:[0,1] neg_hi:[0,1]
	v_pk_add_f32 v[64:65], v[64:65], v[72:73] neg_lo:[0,1] neg_hi:[0,1]
	v_mov_b32_e32 v4, v57
	v_pk_mul_f32 v[46:47], v[46:47], s[18:19]
	v_pk_mul_f32 v[58:59], v[6:7], s[16:17]
	v_pk_add_f32 v[4:5], v[44:45], v[4:5] neg_lo:[0,1] neg_hi:[0,1]
	v_pk_mul_f32 v[44:45], v[60:61], s[22:23]
	v_pk_add_f32 v[56:57], v[52:53], v[66:67]
	v_mov_b32_e32 v60, v58
	v_mov_b32_e32 v61, v47
	v_pk_mul_f32 v[66:67], v[64:65], s[10:11]
	v_pk_fma_f32 v[6:7], v[6:7], s[16:17], v[46:47]
	v_mov_b32_e32 v47, v59
	v_pk_fma_f32 v[60:61], v[4:5], s[20:21], v[60:61] op_sel_hi:[1,0,1] neg_lo:[1,0,1] neg_hi:[1,0,1]
	v_mov_b32_e32 v72, v66
	v_mov_b32_e32 v73, v45
	v_pk_fma_f32 v[4:5], v[4:5], s[20:21], v[46:47] op_sel_hi:[1,0,1] neg_lo:[0,0,1] neg_hi:[0,0,1]
	v_pk_fma_f32 v[46:47], v[64:65], s[10:11], v[44:45]
	v_mov_b32_e32 v45, v67
	v_pk_fma_f32 v[52:53], v[52:53], s[14:15], v[56:57] op_sel_hi:[1,0,1] neg_lo:[1,0,0] neg_hi:[1,0,0]
	v_pk_fma_f32 v[72:73], v[50:51], s[12:13], v[72:73] op_sel_hi:[1,0,1] neg_lo:[1,0,1] neg_hi:[1,0,1]
	;; [unrolled: 1-line block ×3, first 2 shown]
	v_pk_add_f32 v[60:61], v[60:61], v[52:53]
	v_pk_fma_f32 v[72:73], v[48:49], s[4:5], v[72:73] op_sel_hi:[1,0,1]
	v_pk_add_f32 v[4:5], v[4:5], v[52:53]
	v_pk_fma_f32 v[44:45], v[48:49], s[4:5], v[44:45] op_sel_hi:[1,0,1]
	v_pk_add_f32 v[74:75], v[60:61], v[72:73]
	v_pk_add_f32 v[60:61], v[60:61], v[72:73] neg_lo:[0,1] neg_hi:[0,1]
	v_pk_add_f32 v[50:51], v[4:5], v[44:45] neg_lo:[0,1] neg_hi:[0,1]
	v_pk_add_f32 v[4:5], v[4:5], v[44:45]
	v_mov_b32_e32 v44, v74
	v_mov_b32_e32 v45, v61
	;; [unrolled: 1-line block ×4, first 2 shown]
	s_barrier
	ds_write2_b64 v19, v[44:45], v[58:59] offset0:8 offset1:204
	s_waitcnt vmcnt(0)
	v_mov_b32_e32 v26, v41
	v_pk_mul_f32 v[58:59], v[2:3], v[40:41] op_sel:[1,0] op_sel_hi:[0,1]
	v_pk_mul_f32 v[44:45], v[2:3], v[26:27] op_sel:[1,0] op_sel_hi:[0,1]
	v_mov_b32_e32 v26, v59
	v_pk_fma_f32 v[58:59], v[2:3], v[40:41], v[26:27] op_sel:[1,0,0] op_sel_hi:[0,1,1] neg_lo:[0,0,1] neg_hi:[0,0,1]
	v_pk_mul_f32 v[2:3], v[2:3], v[40:41]
	v_pk_mul_f32 v[40:41], v[0:1], v[42:43] op_sel:[1,0] op_sel_hi:[0,1]
	v_mov_b32_e32 v26, v41
	v_pk_fma_f32 v[40:41], v[0:1], v[42:43], v[26:27] op_sel:[1,0,0] op_sel_hi:[0,1,1] neg_lo:[0,0,1] neg_hi:[0,0,1]
	v_mov_b32_e32 v26, v43
	v_pk_mul_f32 v[64:65], v[0:1], v[42:43]
	v_pk_mul_f32 v[0:1], v[0:1], v[26:27] op_sel:[1,0] op_sel_hi:[0,1]
	v_mov_b32_e32 v65, v32
	v_mov_b32_e32 v1, v68
	;; [unrolled: 1-line block ×4, first 2 shown]
	v_pk_add_f32 v[0:1], v[64:65], v[0:1]
	v_pk_add_f32 v[2:3], v[2:3], v[44:45]
	v_mov_b32_e32 v33, v35
	v_mov_b32_e32 v31, v37
	;; [unrolled: 1-line block ×6, first 2 shown]
	v_pk_add_f32 v[28:29], v[32:33], v[68:69]
	v_pk_add_f32 v[32:33], v[32:33], v[68:69] neg_lo:[0,1] neg_hi:[0,1]
	v_pk_add_f32 v[34:35], v[30:31], v[70:71]
	v_pk_add_f32 v[30:31], v[30:31], v[70:71] neg_lo:[0,1] neg_hi:[0,1]
	v_pk_add_f32 v[36:37], v[40:41], v[58:59] neg_lo:[0,1] neg_hi:[0,1]
	v_mov_b32_e32 v43, v33
	v_mov_b32_e32 v42, v36
	;; [unrolled: 1-line block ×4, first 2 shown]
	v_pk_add_f32 v[42:43], v[42:43], v[44:45] neg_lo:[0,1] neg_hi:[0,1]
	v_pk_add_f32 v[6:7], v[6:7], v[52:53]
	v_pk_fma_f32 v[44:45], v[48:49], s[4:5], v[46:47] op_sel_hi:[1,0,1]
	v_mov_b32_e32 v5, v51
	v_pk_add_f32 v[46:47], v[6:7], v[44:45]
	v_pk_add_f32 v[6:7], v[6:7], v[44:45] neg_lo:[0,1] neg_hi:[0,1]
	v_mov_b32_e32 v61, v75
	v_mov_b32_e32 v45, v7
	;; [unrolled: 1-line block ×3, first 2 shown]
	ds_write2_b64 v21, v[4:5], v[60:61] offset0:16 offset1:212
	ds_write_b64 v15, v[6:7] offset:9408
	v_mov_b32_e32 v4, v35
	v_mov_b32_e32 v5, v58
	;; [unrolled: 1-line block ×4, first 2 shown]
	v_pk_add_f32 v[4:5], v[4:5], v[6:7]
	v_pk_add_f32 v[6:7], v[2:3], v[0:1]
	v_mov_b32_e32 v44, v46
	v_mov_b32_e32 v0, v6
	;; [unrolled: 1-line block ×4, first 2 shown]
	ds_write2_b64 v15, v[56:57], v[44:45] offset1:196
	v_mov_b32_e32 v44, v32
	v_mov_b32_e32 v45, v37
	;; [unrolled: 1-line block ×4, first 2 shown]
	v_pk_add_f32 v[40:41], v[0:1], v[40:41] neg_lo:[0,1] neg_hi:[0,1]
	v_mov_b32_e32 v46, v29
	v_mov_b32_e32 v47, v5
	;; [unrolled: 1-line block ×3, first 2 shown]
	v_pk_add_f32 v[4:5], v[4:5], v[6:7]
	v_pk_mul_f32 v[42:43], v[42:43], s[22:23]
	v_pk_add_f32 v[44:45], v[44:45], v[48:49] neg_lo:[0,1] neg_hi:[0,1]
	v_pk_add_f32 v[36:37], v[36:37], v[30:31]
	v_pk_add_f32 v[46:47], v[46:47], v[2:3] neg_lo:[0,1] neg_hi:[0,1]
	v_pk_add_f32 v[6:7], v[4:5], v[54:55]
	v_pk_mul_f32 v[40:41], v[40:41], s[18:19]
	v_pk_mul_f32 v[48:49], v[44:45], s[10:11]
	v_pk_add_f32 v[36:37], v[36:37], v[32:33]
	v_pk_mul_f32 v[50:51], v[46:47], s[16:17]
	v_pk_fma_f32 v[4:5], v[4:5], s[14:15], v[6:7] op_sel_hi:[1,0,1] neg_lo:[1,0,0] neg_hi:[1,0,0]
	v_pk_fma_f32 v[46:47], v[46:47], s[16:17], v[40:41]
	v_pk_fma_f32 v[44:45], v[44:45], s[10:11], v[42:43]
	v_pk_add_f32 v[46:47], v[46:47], v[4:5]
	v_pk_fma_f32 v[44:45], v[36:37], s[4:5], v[44:45] op_sel_hi:[1,0,1]
	v_mov_b32_e32 v2, v35
	v_pk_add_f32 v[52:53], v[46:47], v[44:45]
	v_pk_add_f32 v[44:45], v[46:47], v[44:45] neg_lo:[0,1] neg_hi:[0,1]
	v_mov_b32_e32 v46, v52
	v_mov_b32_e32 v47, v45
	;; [unrolled: 1-line block ×3, first 2 shown]
	ds_write2_b64 v23, v[6:7], v[46:47] offset1:196
	v_pk_add_f32 v[6:7], v[30:31], v[32:33] neg_lo:[0,1] neg_hi:[0,1]
	v_pk_add_f32 v[0:1], v[2:3], v[0:1] neg_lo:[0,1] neg_hi:[0,1]
	v_mov_b32_e32 v2, v50
	v_mov_b32_e32 v3, v41
	v_mov_b32_e32 v28, v48
	v_mov_b32_e32 v29, v43
	v_mov_b32_e32 v41, v51
	v_mov_b32_e32 v43, v49
	v_pk_fma_f32 v[2:3], v[0:1], s[20:21], v[2:3] op_sel_hi:[1,0,1] neg_lo:[1,0,1] neg_hi:[1,0,1]
	v_pk_fma_f32 v[28:29], v[6:7], s[12:13], v[28:29] op_sel_hi:[1,0,1] neg_lo:[1,0,1] neg_hi:[1,0,1]
	;; [unrolled: 1-line block ×4, first 2 shown]
	v_pk_add_f32 v[2:3], v[2:3], v[4:5]
	v_pk_fma_f32 v[28:29], v[36:37], s[4:5], v[28:29] op_sel_hi:[1,0,1]
	v_pk_add_f32 v[0:1], v[0:1], v[4:5]
	v_pk_fma_f32 v[4:5], v[36:37], s[4:5], v[6:7] op_sel_hi:[1,0,1]
	v_pk_add_f32 v[30:31], v[2:3], v[28:29]
	v_pk_add_f32 v[2:3], v[2:3], v[28:29] neg_lo:[0,1] neg_hi:[0,1]
	v_pk_add_f32 v[6:7], v[0:1], v[4:5] neg_lo:[0,1] neg_hi:[0,1]
	v_pk_add_f32 v[0:1], v[0:1], v[4:5]
	v_mov_b32_e32 v28, v30
	v_mov_b32_e32 v29, v3
	;; [unrolled: 1-line block ×4, first 2 shown]
	v_add_u32_e32 v1, 0xc00, v23
	ds_write2_b64 v1, v[28:29], v[4:5] offset0:8 offset1:204
	v_mov_b32_e32 v1, v7
	v_mov_b32_e32 v3, v31
	v_add_u32_e32 v4, 0x1800, v23
	v_mov_b32_e32 v45, v53
	ds_write2_b64 v4, v[0:1], v[2:3] offset0:16 offset1:212
	ds_write_b64 v23, v[44:45] offset:9408
	s_waitcnt lgkmcnt(0)
	s_barrier
	ds_read_b64 v[4:5], v17
	s_add_u32 s4, s8, 0x2ad0
	s_addc_u32 s5, s9, 0
	v_sub_u32_e32 v6, v38, v13
                                        ; implicit-def: $vgpr3
                                        ; implicit-def: $vgpr0_vgpr1
	s_and_saveexec_b64 s[8:9], vcc
	s_xor_b64 s[8:9], exec, s[8:9]
	s_cbranch_execz .LBB0_15
; %bb.14:
	v_mov_b32_e32 v13, v27
	v_lshl_add_u64 v[0:1], v[12:13], 3, s[4:5]
	global_load_dwordx2 v[0:1], v[0:1], off
	ds_read_b64 v[2:3], v6 offset:10976
	v_mov_b32_e32 v27, 0.5
	v_mov_b32_e32 v28, v27
	s_waitcnt lgkmcnt(0)
	v_pk_add_f32 v[30:31], v[2:3], v[4:5]
	v_pk_add_f32 v[2:3], v[4:5], v[2:3] neg_lo:[0,1] neg_hi:[0,1]
	v_mov_b32_e32 v4, v31
	v_mov_b32_e32 v5, v2
	v_pk_mul_f32 v[4:5], v[4:5], 0.5 op_sel_hi:[1,0]
	s_waitcnt vmcnt(0)
	v_mov_b32_e32 v26, v1
	v_mov_b32_e32 v2, v5
	;; [unrolled: 1-line block ×4, first 2 shown]
	v_pk_mul_f32 v[2:3], v[26:27], v[2:3]
	v_pk_mul_f32 v[32:33], v[0:1], v[4:5] op_sel_hi:[0,1]
	v_pk_fma_f32 v[26:27], v[30:31], v[28:29], v[2:3]
	v_pk_fma_f32 v[28:29], v[30:31], v[28:29], v[2:3] neg_lo:[0,0,1] neg_hi:[0,0,1]
	v_pk_fma_f32 v[2:3], v[0:1], v[4:5], v[26:27] op_sel_hi:[0,1,1] neg_lo:[1,0,0] neg_hi:[1,0,0]
	v_pk_fma_f32 v[0:1], v[0:1], v[4:5], v[28:29] op_sel_hi:[0,1,1] neg_lo:[1,0,0] neg_hi:[1,0,0]
	v_add_f32_e32 v2, v26, v32
                                        ; implicit-def: $vgpr4_vgpr5
.LBB0_15:
	s_andn2_saveexec_b64 s[8:9], s[8:9]
	s_cbranch_execz .LBB0_17
; %bb.16:
	ds_read_b32 v3, v38 offset:5492
	s_waitcnt lgkmcnt(1)
	v_mov_b32_e32 v0, v5
	v_pk_add_f32 v[0:1], v[4:5], v[0:1] neg_lo:[0,1] neg_hi:[0,1]
	v_add_f32_e32 v2, v5, v4
	v_mov_b32_e32 v1, 0
	s_waitcnt lgkmcnt(0)
	v_xor_b32_e32 v3, 0x80000000, v3
	ds_write_b32 v38, v3 offset:5492
	v_mov_b32_e32 v3, v1
.LBB0_17:
	s_or_b64 exec, exec, s[8:9]
	v_mov_b32_e32 v15, 0
	s_waitcnt lgkmcnt(0)
	v_lshl_add_u64 v[4:5], v[14:15], 3, s[4:5]
	global_load_dwordx2 v[4:5], v[4:5], off
	v_mov_b32_e32 v23, v15
	v_lshl_add_u64 v[26:27], v[22:23], 3, s[4:5]
	global_load_dwordx2 v[26:27], v[26:27], off
	v_mov_b32_e32 v25, v15
	;; [unrolled: 3-line block ×3, first 2 shown]
	ds_write_b64 v17, v[2:3]
	v_lshl_add_u64 v[2:3], v[20:21], 3, s[4:5]
	global_load_dwordx2 v[2:3], v[2:3], off
	v_mov_b32_e32 v19, v15
	ds_write_b64 v6, v[0:1] offset:10976
	v_lshl_add_u32 v7, v14, 3, v38
	v_lshl_add_u64 v[34:35], v[18:19], 3, s[4:5]
	v_lshl_add_u32 v13, v22, 3, v38
	v_lshl_add_u32 v14, v24, 3, v38
	ds_read_b64 v[22:23], v7
	ds_read_b64 v[24:25], v6 offset:10192
	global_load_dwordx2 v[34:35], v[34:35], off
	v_mov_b32_e32 v1, 0.5
	v_mov_b32_e32 v30, v1
	v_mov_b32_e32 v17, v15
	s_waitcnt lgkmcnt(0)
	v_pk_add_f32 v[36:37], v[22:23], v[24:25]
	v_pk_add_f32 v[22:23], v[22:23], v[24:25] neg_lo:[0,1] neg_hi:[0,1]
	v_mov_b32_e32 v24, v37
	v_mov_b32_e32 v25, v22
	v_pk_mul_f32 v[24:25], v[24:25], 0.5 op_sel_hi:[1,0]
	v_mov_b32_e32 v32, v1
	v_mov_b32_e32 v37, v24
	;; [unrolled: 1-line block ×3, first 2 shown]
	s_waitcnt vmcnt(4)
	v_mov_b32_e32 v31, v5
	v_mov_b32_e32 v0, v5
	v_pk_mul_f32 v[30:31], v[36:37], v[30:31]
	s_waitcnt vmcnt(3)
	v_mov_b32_e32 v33, v27
	v_pk_fma_f32 v[36:37], v[0:1], v[22:23], v[30:31] neg_lo:[1,0,0] neg_hi:[1,0,0]
	v_pk_fma_f32 v[22:23], v[0:1], v[22:23], v[30:31]
	v_pk_fma_f32 v[30:31], v[4:5], v[24:25], v[36:37] op_sel_hi:[0,1,1] neg_lo:[1,0,0] neg_hi:[1,0,0]
	v_pk_fma_f32 v[36:37], v[4:5], v[24:25], v[22:23] op_sel_hi:[0,1,1]
	v_pk_fma_f32 v[4:5], v[4:5], v[24:25], v[22:23] op_sel_hi:[0,1,1] neg_lo:[1,0,0] neg_hi:[1,0,0]
	v_mov_b32_e32 v37, v5
	ds_write_b64 v7, v[36:37]
	ds_write_b64 v6, v[30:31] offset:10192
	v_lshl_add_u64 v[24:25], v[16:17], 3, s[4:5]
	ds_read_b64 v[4:5], v13
	ds_read_b64 v[22:23], v6 offset:9408
	global_load_dwordx2 v[24:25], v[24:25], off
	v_mov_b32_e32 v0, v27
	v_lshl_add_u32 v7, v20, 3, v38
	v_mov_b32_e32 v20, v1
	s_waitcnt lgkmcnt(0)
	v_pk_add_f32 v[30:31], v[4:5], v[22:23]
	v_pk_add_f32 v[4:5], v[4:5], v[22:23] neg_lo:[0,1] neg_hi:[0,1]
	v_mov_b32_e32 v22, v31
	v_mov_b32_e32 v23, v4
	v_pk_mul_f32 v[22:23], v[22:23], 0.5 op_sel_hi:[1,0]
	s_waitcnt vmcnt(3)
	v_mov_b32_e32 v21, v29
	v_mov_b32_e32 v31, v22
	;; [unrolled: 1-line block ×3, first 2 shown]
	v_pk_mul_f32 v[30:31], v[30:31], v[32:33]
	s_waitcnt vmcnt(2)
	v_mov_b32_e32 v19, v3
	v_pk_fma_f32 v[32:33], v[0:1], v[4:5], v[30:31] neg_lo:[1,0,0] neg_hi:[1,0,0]
	v_pk_fma_f32 v[4:5], v[0:1], v[4:5], v[30:31]
	v_pk_fma_f32 v[30:31], v[26:27], v[22:23], v[32:33] op_sel_hi:[0,1,1] neg_lo:[1,0,0] neg_hi:[1,0,0]
	v_pk_fma_f32 v[32:33], v[26:27], v[22:23], v[4:5] op_sel_hi:[0,1,1]
	v_pk_fma_f32 v[4:5], v[26:27], v[22:23], v[4:5] op_sel_hi:[0,1,1] neg_lo:[1,0,0] neg_hi:[1,0,0]
	v_mov_b32_e32 v33, v5
	ds_write_b64 v13, v[32:33]
	ds_write_b64 v6, v[30:31] offset:9408
	ds_read_b64 v[4:5], v14
	ds_read_b64 v[22:23], v6 offset:8624
	v_mov_b32_e32 v0, v29
	v_lshl_add_u32 v13, v18, 3, v38
	v_mov_b32_e32 v18, v1
	s_waitcnt vmcnt(1)
	v_mov_b32_e32 v17, v35
	s_waitcnt lgkmcnt(0)
	v_pk_add_f32 v[26:27], v[4:5], v[22:23]
	v_pk_add_f32 v[4:5], v[4:5], v[22:23] neg_lo:[0,1] neg_hi:[0,1]
	v_mov_b32_e32 v22, v27
	v_mov_b32_e32 v23, v4
	v_pk_mul_f32 v[22:23], v[22:23], 0.5 op_sel_hi:[1,0]
	s_nop 0
	v_mov_b32_e32 v27, v22
	v_mov_b32_e32 v4, v23
	v_pk_mul_f32 v[20:21], v[26:27], v[20:21]
	s_nop 0
	v_pk_fma_f32 v[26:27], v[0:1], v[4:5], v[20:21] neg_lo:[1,0,0] neg_hi:[1,0,0]
	v_pk_fma_f32 v[4:5], v[0:1], v[4:5], v[20:21]
	v_pk_fma_f32 v[20:21], v[28:29], v[22:23], v[26:27] op_sel_hi:[0,1,1] neg_lo:[1,0,0] neg_hi:[1,0,0]
	v_pk_fma_f32 v[26:27], v[28:29], v[22:23], v[4:5] op_sel_hi:[0,1,1]
	v_pk_fma_f32 v[4:5], v[28:29], v[22:23], v[4:5] op_sel_hi:[0,1,1] neg_lo:[1,0,0] neg_hi:[1,0,0]
	v_mov_b32_e32 v27, v5
	ds_write_b64 v14, v[26:27]
	ds_write_b64 v6, v[20:21] offset:8624
	ds_read_b64 v[4:5], v7
	ds_read_b64 v[20:21], v6 offset:7840
	v_mov_b32_e32 v0, v3
	s_waitcnt lgkmcnt(0)
	v_pk_add_f32 v[22:23], v[4:5], v[20:21]
	v_pk_add_f32 v[4:5], v[4:5], v[20:21] neg_lo:[0,1] neg_hi:[0,1]
	v_mov_b32_e32 v20, v23
	v_mov_b32_e32 v21, v4
	v_pk_mul_f32 v[20:21], v[20:21], 0.5 op_sel_hi:[1,0]
	s_nop 0
	v_mov_b32_e32 v23, v20
	v_mov_b32_e32 v4, v21
	v_pk_mul_f32 v[18:19], v[22:23], v[18:19]
	s_nop 0
	v_pk_fma_f32 v[22:23], v[0:1], v[4:5], v[18:19] neg_lo:[1,0,0] neg_hi:[1,0,0]
	v_pk_fma_f32 v[4:5], v[0:1], v[4:5], v[18:19]
	v_pk_fma_f32 v[18:19], v[2:3], v[20:21], v[22:23] op_sel_hi:[0,1,1] neg_lo:[1,0,0] neg_hi:[1,0,0]
	v_pk_fma_f32 v[22:23], v[2:3], v[20:21], v[4:5] op_sel_hi:[0,1,1]
	v_pk_fma_f32 v[2:3], v[2:3], v[20:21], v[4:5] op_sel_hi:[0,1,1] neg_lo:[1,0,0] neg_hi:[1,0,0]
	v_mov_b32_e32 v23, v3
	ds_write_b64 v7, v[22:23]
	ds_write_b64 v6, v[18:19] offset:7840
	ds_read_b64 v[2:3], v13
	ds_read_b64 v[4:5], v6 offset:7056
	v_lshl_add_u32 v7, v16, 3, v38
	v_mov_b32_e32 v16, v1
	v_mov_b32_e32 v0, v35
	s_waitcnt lgkmcnt(0)
	v_pk_add_f32 v[18:19], v[2:3], v[4:5]
	v_pk_add_f32 v[2:3], v[2:3], v[4:5] neg_lo:[0,1] neg_hi:[0,1]
	v_mov_b32_e32 v4, v19
	v_mov_b32_e32 v5, v2
	v_pk_mul_f32 v[4:5], v[4:5], 0.5 op_sel_hi:[1,0]
	s_nop 0
	v_mov_b32_e32 v19, v4
	v_mov_b32_e32 v2, v5
	v_pk_mul_f32 v[16:17], v[18:19], v[16:17]
	s_nop 0
	v_pk_fma_f32 v[18:19], v[0:1], v[2:3], v[16:17] neg_lo:[1,0,0] neg_hi:[1,0,0]
	v_pk_fma_f32 v[2:3], v[0:1], v[2:3], v[16:17]
	v_pk_fma_f32 v[16:17], v[34:35], v[4:5], v[18:19] op_sel_hi:[0,1,1] neg_lo:[1,0,0] neg_hi:[1,0,0]
	v_pk_fma_f32 v[18:19], v[34:35], v[4:5], v[2:3] op_sel_hi:[0,1,1]
	v_pk_fma_f32 v[2:3], v[34:35], v[4:5], v[2:3] op_sel_hi:[0,1,1] neg_lo:[1,0,0] neg_hi:[1,0,0]
	v_mov_b32_e32 v19, v3
	ds_write_b64 v13, v[18:19]
	ds_write_b64 v6, v[16:17] offset:7056
	ds_read_b64 v[2:3], v7
	ds_read_b64 v[4:5], v6 offset:6272
	v_mov_b32_e32 v16, v1
	s_waitcnt vmcnt(0)
	v_mov_b32_e32 v17, v25
	v_mov_b32_e32 v0, v25
	s_waitcnt lgkmcnt(0)
	v_pk_add_f32 v[18:19], v[2:3], v[4:5]
	v_pk_add_f32 v[2:3], v[2:3], v[4:5] neg_lo:[0,1] neg_hi:[0,1]
	v_mov_b32_e32 v4, v19
	v_mov_b32_e32 v5, v2
	v_pk_mul_f32 v[4:5], v[4:5], 0.5 op_sel_hi:[1,0]
	s_nop 0
	v_mov_b32_e32 v19, v4
	v_mov_b32_e32 v2, v5
	v_pk_mul_f32 v[16:17], v[18:19], v[16:17]
	s_nop 0
	v_pk_fma_f32 v[18:19], v[0:1], v[2:3], v[16:17] neg_lo:[1,0,0] neg_hi:[1,0,0]
	v_pk_fma_f32 v[0:1], v[0:1], v[2:3], v[16:17]
	v_pk_fma_f32 v[2:3], v[24:25], v[4:5], v[18:19] op_sel_hi:[0,1,1] neg_lo:[1,0,0] neg_hi:[1,0,0]
	v_pk_fma_f32 v[16:17], v[24:25], v[4:5], v[0:1] op_sel_hi:[0,1,1]
	v_pk_fma_f32 v[0:1], v[24:25], v[4:5], v[0:1] op_sel_hi:[0,1,1] neg_lo:[1,0,0] neg_hi:[1,0,0]
	v_mov_b32_e32 v17, v1
	ds_write_b64 v7, v[16:17]
	ds_write_b64 v6, v[2:3] offset:6272
	s_waitcnt lgkmcnt(0)
	s_barrier
	s_and_saveexec_b64 s[4:5], s[0:1]
	s_cbranch_execz .LBB0_20
; %bb.18:
	v_mul_lo_u32 v2, s3, v10
	v_mul_lo_u32 v3, s2, v11
	v_mad_u64_u32 v[0:1], s[0:1], s2, v10, 0
	v_add3_u32 v1, v1, v3, v2
	v_lshl_add_u32 v2, v12, 3, v38
	ds_read2_b64 v[4:7], v2 offset1:98
	v_lshl_add_u64 v[0:1], v[0:1], 3, s[6:7]
	v_mov_b32_e32 v13, v15
	v_lshl_add_u64 v[0:1], v[8:9], 3, v[0:1]
	v_lshl_add_u64 v[8:9], v[12:13], 3, v[0:1]
	v_add_u32_e32 v3, 0x400, v2
	s_waitcnt lgkmcnt(0)
	global_store_dwordx2 v[8:9], v[4:5], off
	ds_read2_b64 v[8:11], v3 offset0:68 offset1:166
	v_add_u32_e32 v14, 0x62, v12
	v_lshl_add_u64 v[4:5], v[14:15], 3, v[0:1]
	v_add_u32_e32 v14, 0xc4, v12
	global_store_dwordx2 v[4:5], v[6:7], off
	v_lshl_add_u64 v[4:5], v[14:15], 3, v[0:1]
	v_add_u32_e32 v3, 0x800, v2
	s_waitcnt lgkmcnt(0)
	global_store_dwordx2 v[4:5], v[8:9], off
	ds_read2_b64 v[4:7], v3 offset0:136 offset1:234
	v_add_u32_e32 v14, 0x126, v12
	v_lshl_add_u64 v[8:9], v[14:15], 3, v[0:1]
	v_add_u32_e32 v14, 0x188, v12
	global_store_dwordx2 v[8:9], v[10:11], off
	;; [unrolled: 9-line block ×6, first 2 shown]
	v_lshl_add_u64 v[8:9], v[14:15], 3, v[0:1]
	v_add_u32_e32 v14, 0x4fa, v12
	s_movk_i32 s0, 0x61
	s_waitcnt lgkmcnt(0)
	global_store_dwordx2 v[8:9], v[4:5], off
	v_lshl_add_u64 v[4:5], v[14:15], 3, v[0:1]
	v_cmp_eq_u32_e32 vcc, s0, v12
	global_store_dwordx2 v[4:5], v[6:7], off
	s_and_b64 exec, exec, vcc
	s_cbranch_execz .LBB0_20
; %bb.19:
	ds_read_b64 v[2:3], v2 offset:10200
	v_add_co_u32_e32 v0, vcc, 0x2000, v0
	s_nop 1
	v_addc_co_u32_e32 v1, vcc, 0, v1, vcc
	s_waitcnt lgkmcnt(0)
	global_store_dwordx2 v[0:1], v[2:3], off offset:2784
.LBB0_20:
	s_endpgm
	.section	.rodata,"a",@progbits
	.p2align	6, 0x0
	.amdhsa_kernel fft_rtc_back_len1372_factors_2_2_7_7_7_wgs_196_tpt_98_halfLds_sp_op_CI_CI_unitstride_sbrr_R2C_dirReg
		.amdhsa_group_segment_fixed_size 0
		.amdhsa_private_segment_fixed_size 0
		.amdhsa_kernarg_size 104
		.amdhsa_user_sgpr_count 2
		.amdhsa_user_sgpr_dispatch_ptr 0
		.amdhsa_user_sgpr_queue_ptr 0
		.amdhsa_user_sgpr_kernarg_segment_ptr 1
		.amdhsa_user_sgpr_dispatch_id 0
		.amdhsa_user_sgpr_kernarg_preload_length 0
		.amdhsa_user_sgpr_kernarg_preload_offset 0
		.amdhsa_user_sgpr_private_segment_size 0
		.amdhsa_uses_dynamic_stack 0
		.amdhsa_enable_private_segment 0
		.amdhsa_system_sgpr_workgroup_id_x 1
		.amdhsa_system_sgpr_workgroup_id_y 0
		.amdhsa_system_sgpr_workgroup_id_z 0
		.amdhsa_system_sgpr_workgroup_info 0
		.amdhsa_system_vgpr_workitem_id 0
		.amdhsa_next_free_vgpr 92
		.amdhsa_next_free_sgpr 28
		.amdhsa_accum_offset 92
		.amdhsa_reserve_vcc 1
		.amdhsa_float_round_mode_32 0
		.amdhsa_float_round_mode_16_64 0
		.amdhsa_float_denorm_mode_32 3
		.amdhsa_float_denorm_mode_16_64 3
		.amdhsa_dx10_clamp 1
		.amdhsa_ieee_mode 1
		.amdhsa_fp16_overflow 0
		.amdhsa_tg_split 0
		.amdhsa_exception_fp_ieee_invalid_op 0
		.amdhsa_exception_fp_denorm_src 0
		.amdhsa_exception_fp_ieee_div_zero 0
		.amdhsa_exception_fp_ieee_overflow 0
		.amdhsa_exception_fp_ieee_underflow 0
		.amdhsa_exception_fp_ieee_inexact 0
		.amdhsa_exception_int_div_zero 0
	.end_amdhsa_kernel
	.text
.Lfunc_end0:
	.size	fft_rtc_back_len1372_factors_2_2_7_7_7_wgs_196_tpt_98_halfLds_sp_op_CI_CI_unitstride_sbrr_R2C_dirReg, .Lfunc_end0-fft_rtc_back_len1372_factors_2_2_7_7_7_wgs_196_tpt_98_halfLds_sp_op_CI_CI_unitstride_sbrr_R2C_dirReg
                                        ; -- End function
	.section	.AMDGPU.csdata,"",@progbits
; Kernel info:
; codeLenInByte = 9996
; NumSgprs: 34
; NumVgprs: 92
; NumAgprs: 0
; TotalNumVgprs: 92
; ScratchSize: 0
; MemoryBound: 0
; FloatMode: 240
; IeeeMode: 1
; LDSByteSize: 0 bytes/workgroup (compile time only)
; SGPRBlocks: 4
; VGPRBlocks: 11
; NumSGPRsForWavesPerEU: 34
; NumVGPRsForWavesPerEU: 92
; AccumOffset: 92
; Occupancy: 5
; WaveLimiterHint : 1
; COMPUTE_PGM_RSRC2:SCRATCH_EN: 0
; COMPUTE_PGM_RSRC2:USER_SGPR: 2
; COMPUTE_PGM_RSRC2:TRAP_HANDLER: 0
; COMPUTE_PGM_RSRC2:TGID_X_EN: 1
; COMPUTE_PGM_RSRC2:TGID_Y_EN: 0
; COMPUTE_PGM_RSRC2:TGID_Z_EN: 0
; COMPUTE_PGM_RSRC2:TIDIG_COMP_CNT: 0
; COMPUTE_PGM_RSRC3_GFX90A:ACCUM_OFFSET: 22
; COMPUTE_PGM_RSRC3_GFX90A:TG_SPLIT: 0
	.text
	.p2alignl 6, 3212836864
	.fill 256, 4, 3212836864
	.type	__hip_cuid_2ea15b264cf51dce,@object ; @__hip_cuid_2ea15b264cf51dce
	.section	.bss,"aw",@nobits
	.globl	__hip_cuid_2ea15b264cf51dce
__hip_cuid_2ea15b264cf51dce:
	.byte	0                               ; 0x0
	.size	__hip_cuid_2ea15b264cf51dce, 1

	.ident	"AMD clang version 19.0.0git (https://github.com/RadeonOpenCompute/llvm-project roc-6.4.0 25133 c7fe45cf4b819c5991fe208aaa96edf142730f1d)"
	.section	".note.GNU-stack","",@progbits
	.addrsig
	.addrsig_sym __hip_cuid_2ea15b264cf51dce
	.amdgpu_metadata
---
amdhsa.kernels:
  - .agpr_count:     0
    .args:
      - .actual_access:  read_only
        .address_space:  global
        .offset:         0
        .size:           8
        .value_kind:     global_buffer
      - .offset:         8
        .size:           8
        .value_kind:     by_value
      - .actual_access:  read_only
        .address_space:  global
        .offset:         16
        .size:           8
        .value_kind:     global_buffer
      - .actual_access:  read_only
        .address_space:  global
        .offset:         24
        .size:           8
        .value_kind:     global_buffer
      - .actual_access:  read_only
        .address_space:  global
        .offset:         32
        .size:           8
        .value_kind:     global_buffer
      - .offset:         40
        .size:           8
        .value_kind:     by_value
      - .actual_access:  read_only
        .address_space:  global
        .offset:         48
        .size:           8
        .value_kind:     global_buffer
      - .actual_access:  read_only
        .address_space:  global
        .offset:         56
        .size:           8
        .value_kind:     global_buffer
      - .offset:         64
        .size:           4
        .value_kind:     by_value
      - .actual_access:  read_only
        .address_space:  global
        .offset:         72
        .size:           8
        .value_kind:     global_buffer
      - .actual_access:  read_only
        .address_space:  global
        .offset:         80
        .size:           8
        .value_kind:     global_buffer
      - .actual_access:  read_only
        .address_space:  global
        .offset:         88
        .size:           8
        .value_kind:     global_buffer
      - .actual_access:  write_only
        .address_space:  global
        .offset:         96
        .size:           8
        .value_kind:     global_buffer
    .group_segment_fixed_size: 0
    .kernarg_segment_align: 8
    .kernarg_segment_size: 104
    .language:       OpenCL C
    .language_version:
      - 2
      - 0
    .max_flat_workgroup_size: 196
    .name:           fft_rtc_back_len1372_factors_2_2_7_7_7_wgs_196_tpt_98_halfLds_sp_op_CI_CI_unitstride_sbrr_R2C_dirReg
    .private_segment_fixed_size: 0
    .sgpr_count:     34
    .sgpr_spill_count: 0
    .symbol:         fft_rtc_back_len1372_factors_2_2_7_7_7_wgs_196_tpt_98_halfLds_sp_op_CI_CI_unitstride_sbrr_R2C_dirReg.kd
    .uniform_work_group_size: 1
    .uses_dynamic_stack: false
    .vgpr_count:     92
    .vgpr_spill_count: 0
    .wavefront_size: 64
amdhsa.target:   amdgcn-amd-amdhsa--gfx950
amdhsa.version:
  - 1
  - 2
...

	.end_amdgpu_metadata
